;; amdgpu-corpus repo=ROCm/rocFFT kind=compiled arch=gfx950 opt=O3
	.text
	.amdgcn_target "amdgcn-amd-amdhsa--gfx950"
	.amdhsa_code_object_version 6
	.protected	bluestein_single_back_len1309_dim1_dp_op_CI_CI ; -- Begin function bluestein_single_back_len1309_dim1_dp_op_CI_CI
	.globl	bluestein_single_back_len1309_dim1_dp_op_CI_CI
	.p2align	8
	.type	bluestein_single_back_len1309_dim1_dp_op_CI_CI,@function
bluestein_single_back_len1309_dim1_dp_op_CI_CI: ; @bluestein_single_back_len1309_dim1_dp_op_CI_CI
; %bb.0:
	s_load_dwordx4 s[4:7], s[0:1], 0x28
	v_mul_u32_u24_e32 v1, 0x227, v0
	v_add_u32_sdwa v2, s2, v1 dst_sel:DWORD dst_unused:UNUSED_PAD src0_sel:DWORD src1_sel:WORD_1
	v_mov_b32_e32 v3, 0
	v_accvgpr_write_b32 a0, v2
	s_waitcnt lgkmcnt(0)
	v_cmp_gt_u64_e32 vcc, s[4:5], v[2:3]
	s_and_saveexec_b64 s[2:3], vcc
	s_cbranch_execz .LBB0_23
; %bb.1:
	s_load_dwordx2 s[12:13], s[0:1], 0x0
	s_load_dwordx2 s[14:15], s[0:1], 0x38
	s_movk_i32 s2, 0x77
	v_mul_lo_u16_sdwa v1, v1, s2 dst_sel:DWORD dst_unused:UNUSED_PAD src0_sel:WORD_1 src1_sel:DWORD
	v_sub_u16_e32 v209, v0, v1
	s_movk_i32 s2, 0x4d
	v_cmp_gt_u16_e64 s[4:5], s2, v209
	v_lshlrev_b32_e32 v208, 4, v209
	s_and_saveexec_b64 s[2:3], s[4:5]
	s_cbranch_execz .LBB0_3
; %bb.2:
	s_load_dwordx2 s[8:9], s[0:1], 0x18
	v_accvgpr_read_b32 v10, a0
	v_mov_b32_e32 v0, s6
	v_mov_b32_e32 v1, s7
	;; [unrolled: 1-line block ×3, first 2 shown]
	s_waitcnt lgkmcnt(0)
	s_load_dwordx4 s[8:11], s[8:9], 0x0
	v_mov_b32_e32 v31, v209
	s_waitcnt lgkmcnt(0)
	v_mad_u64_u32 v[2:3], s[6:7], s10, v10, 0
	v_mad_u64_u32 v[4:5], s[6:7], s8, v209, 0
	v_mov_b32_e32 v6, v3
	v_mov_b32_e32 v8, v5
	v_mad_u64_u32 v[6:7], s[6:7], s11, v10, v[6:7]
	v_mov_b32_e32 v3, v6
	v_mad_u64_u32 v[6:7], s[6:7], s9, v209, v[8:9]
	v_mov_b32_e32 v5, v6
	v_lshl_add_u64 v[0:1], v[2:3], 4, v[0:1]
	v_lshl_add_u64 v[8:9], v[4:5], 4, v[0:1]
	v_mad_u64_u32 v[24:25], s[6:7], s8, v30, v[8:9]
	v_mov_b32_e32 v209, 0
	s_movk_i32 s7, 0x1000
	v_lshl_add_u64 v[92:93], s[12:13], 0, v[208:209]
	s_mul_i32 s6, s9, 0x4d0
	v_add_co_u32_e32 v56, vcc, s7, v92
	v_add_u32_e32 v25, s6, v25
	s_movk_i32 s9, 0x2000
	v_addc_co_u32_e32 v57, vcc, 0, v93, vcc
	v_mad_u64_u32 v[28:29], s[10:11], s8, v30, v[24:25]
	v_add_co_u32_e32 v58, vcc, s9, v92
	global_load_dwordx4 v[0:3], v[8:9], off
	global_load_dwordx4 v[4:7], v208, s[12:13]
	v_add_u32_e32 v29, s6, v29
	s_movk_i32 s10, 0x4000
	v_addc_co_u32_e32 v59, vcc, 0, v93, vcc
	global_load_dwordx4 v[8:11], v208, s[12:13] offset:1232
	global_load_dwordx4 v[12:15], v208, s[12:13] offset:2464
	global_load_dwordx4 v[20:23], v[24:25], off
	global_load_dwordx4 v[16:19], v[28:29], off
	v_add_co_u32_e32 v132, vcc, s10, v92
	v_mad_u64_u32 v[28:29], s[10:11], s8, v30, v[28:29]
	v_add_u32_e32 v29, s6, v29
	global_load_dwordx4 v[24:27], v208, s[12:13] offset:3696
	v_addc_co_u32_e32 v133, vcc, 0, v93, vcc
	global_load_dwordx4 v[32:35], v[56:57], off offset:832
	global_load_dwordx4 v[36:39], v[56:57], off offset:2064
	;; [unrolled: 1-line block ×6, first 2 shown]
	s_nop 0
	global_load_dwordx4 v[56:59], v[28:29], off
	global_load_dwordx4 v[60:63], v[132:133], off offset:3328
	v_mad_u64_u32 v[28:29], s[10:11], s8, v30, v[28:29]
	v_add_u32_e32 v29, s6, v29
	global_load_dwordx4 v[64:67], v[28:29], off
	v_mad_u64_u32 v[28:29], s[10:11], s8, v30, v[28:29]
	v_add_u32_e32 v29, s6, v29
	global_load_dwordx4 v[68:71], v[28:29], off
	;; [unrolled: 3-line block ×5, first 2 shown]
	v_mad_u64_u32 v[28:29], s[10:11], s8, v30, v[28:29]
	v_add_u32_e32 v29, s6, v29
	s_movk_i32 s7, 0x3000
	global_load_dwordx4 v[84:87], v[28:29], off
	v_mad_u64_u32 v[28:29], s[10:11], s8, v30, v[28:29]
	v_add_co_u32_e32 v120, vcc, s7, v92
	v_add_u32_e32 v29, s6, v29
	s_nop 0
	v_addc_co_u32_e32 v121, vcc, 0, v93, vcc
	global_load_dwordx4 v[88:91], v[28:29], off
	global_load_dwordx4 v[92:95], v[120:121], off offset:32
	v_mad_u64_u32 v[28:29], s[10:11], s8, v30, v[28:29]
	v_add_u32_e32 v29, s6, v29
	global_load_dwordx4 v[96:99], v[28:29], off
	global_load_dwordx4 v[100:103], v[120:121], off offset:1264
	v_mad_u64_u32 v[28:29], s[10:11], s8, v30, v[28:29]
	v_add_u32_e32 v29, s6, v29
	;; [unrolled: 4-line block ×5, first 2 shown]
	v_mov_b32_e32 v209, v31
	global_load_dwordx4 v[128:131], v[136:137], off
	s_nop 0
	global_load_dwordx4 v[132:135], v[132:133], off offset:2096
	v_mad_u64_u32 v[30:31], s[8:9], s8, v30, v[136:137]
	v_add_u32_e32 v31, s6, v31
	global_load_dwordx4 v[136:139], v[30:31], off
	s_waitcnt vmcnt(32)
	v_mul_f64 v[28:29], v[2:3], v[6:7]
	v_mul_f64 v[6:7], v[0:1], v[6:7]
	v_fmac_f64_e32 v[28:29], v[0:1], v[4:5]
	v_fma_f64 v[30:31], v[2:3], v[4:5], -v[6:7]
	s_waitcnt vmcnt(29)
	v_mul_f64 v[0:1], v[22:23], v[10:11]
	v_mul_f64 v[2:3], v[20:21], v[10:11]
	v_fmac_f64_e32 v[0:1], v[20:21], v[8:9]
	v_fma_f64 v[2:3], v[22:23], v[8:9], -v[2:3]
	s_waitcnt vmcnt(28)
	v_mul_f64 v[4:5], v[18:19], v[14:15]
	v_mul_f64 v[6:7], v[16:17], v[14:15]
	ds_write_b128 v208, v[28:31]
	v_fmac_f64_e32 v[4:5], v[16:17], v[12:13]
	v_fma_f64 v[6:7], v[18:19], v[12:13], -v[6:7]
	ds_write_b128 v208, v[0:3] offset:1232
	ds_write_b128 v208, v[4:7] offset:2464
	s_waitcnt vmcnt(20)
	v_mul_f64 v[0:1], v[58:59], v[26:27]
	v_mul_f64 v[2:3], v[56:57], v[26:27]
	v_fmac_f64_e32 v[0:1], v[56:57], v[24:25]
	v_fma_f64 v[2:3], v[58:59], v[24:25], -v[2:3]
	ds_write_b128 v208, v[0:3] offset:3696
	s_waitcnt vmcnt(18)
	v_mul_f64 v[0:1], v[66:67], v[34:35]
	v_mul_f64 v[2:3], v[64:65], v[34:35]
	v_fmac_f64_e32 v[0:1], v[64:65], v[32:33]
	v_fma_f64 v[2:3], v[66:67], v[32:33], -v[2:3]
	;; [unrolled: 6-line block ×14, first 2 shown]
	ds_write_b128 v208, v[0:3] offset:19712
.LBB0_3:
	s_or_b64 exec, exec, s[2:3]
	s_waitcnt lgkmcnt(0)
	s_barrier
	s_waitcnt lgkmcnt(0)
                                        ; implicit-def: $vgpr12_vgpr13
                                        ; implicit-def: $vgpr16_vgpr17
                                        ; implicit-def: $vgpr20_vgpr21
                                        ; implicit-def: $vgpr24_vgpr25
                                        ; implicit-def: $vgpr28_vgpr29
                                        ; implicit-def: $vgpr32_vgpr33
                                        ; implicit-def: $vgpr36_vgpr37
                                        ; implicit-def: $vgpr40_vgpr41
                                        ; implicit-def: $vgpr44_vgpr45
                                        ; implicit-def: $vgpr48_vgpr49
                                        ; implicit-def: $vgpr52_vgpr53
                                        ; implicit-def: $vgpr56_vgpr57
                                        ; implicit-def: $vgpr60_vgpr61
                                        ; implicit-def: $vgpr64_vgpr65
                                        ; implicit-def: $vgpr68_vgpr69
                                        ; implicit-def: $vgpr72_vgpr73
                                        ; implicit-def: $vgpr76_vgpr77
	s_and_saveexec_b64 s[2:3], s[4:5]
	s_cbranch_execz .LBB0_5
; %bb.4:
	ds_read_b128 v[12:15], v208
	ds_read_b128 v[16:19], v208 offset:1232
	ds_read_b128 v[20:23], v208 offset:2464
	ds_read_b128 v[24:27], v208 offset:3696
	ds_read_b128 v[28:31], v208 offset:4928
	ds_read_b128 v[32:35], v208 offset:6160
	ds_read_b128 v[36:39], v208 offset:7392
	ds_read_b128 v[40:43], v208 offset:8624
	ds_read_b128 v[44:47], v208 offset:9856
	ds_read_b128 v[48:51], v208 offset:11088
	ds_read_b128 v[52:55], v208 offset:12320
	ds_read_b128 v[56:59], v208 offset:13552
	ds_read_b128 v[60:63], v208 offset:14784
	ds_read_b128 v[64:67], v208 offset:16016
	ds_read_b128 v[68:71], v208 offset:17248
	ds_read_b128 v[72:75], v208 offset:18480
	ds_read_b128 v[76:79], v208 offset:19712
.LBB0_5:
	s_or_b64 exec, exec, s[2:3]
	s_mov_b32 s40, 0x5d8e7cdc
	s_waitcnt lgkmcnt(0)
	v_add_f64 v[10:11], v[18:19], -v[78:79]
	s_mov_b32 s41, 0xbfd71e95
	s_mov_b32 s48, 0x2a9d6da3
	s_load_dwordx2 s[8:9], s[0:1], 0x20
	s_load_dwordx2 s[6:7], s[0:1], 0x8
	v_add_f64 v[8:9], v[16:17], -v[76:77]
	s_mov_b32 s0, 0x370991
	v_mul_f64 v[0:1], v[10:11], s[40:41]
	s_mov_b32 s49, 0xbfe58eea
	v_add_f64 v[110:111], v[22:23], -v[74:75]
	v_add_f64 v[130:131], v[16:17], v[76:77]
	s_mov_b32 s1, 0x3fedd6d0
	v_mul_f64 v[2:3], v[8:9], s[40:41]
	v_accvgpr_write_b32 a15, v1
	s_mov_b32 s10, 0x75d4884
	v_mul_f64 v[112:113], v[110:111], s[48:49]
	v_add_f64 v[132:133], v[18:19], v[78:79]
	v_accvgpr_write_b32 a14, v0
	v_fma_f64 v[0:1], s[0:1], v[130:131], v[0:1]
	v_accvgpr_write_b32 a17, v3
	s_mov_b32 s11, 0x3fe7a5f6
	v_add_f64 v[146:147], v[20:21], v[72:73]
	v_add_f64 v[108:109], v[20:21], -v[72:73]
	v_accvgpr_write_b32 a26, v112
	v_add_f64 v[0:1], v[12:13], v[0:1]
	v_accvgpr_write_b32 a16, v2
	v_fma_f64 v[2:3], v[132:133], s[0:1], -v[2:3]
	s_mov_b32 s42, 0xeb564b22
	v_add_f64 v[148:149], v[22:23], v[74:75]
	v_mul_f64 v[114:115], v[108:109], s[48:49]
	v_accvgpr_write_b32 a27, v113
	v_fma_f64 v[112:113], s[10:11], v[146:147], v[112:113]
	v_add_f64 v[2:3], v[14:15], v[2:3]
	v_mul_f64 v[4:5], v[10:11], s[48:49]
	s_mov_b32 s43, 0xbfefdd0d
	v_add_f64 v[0:1], v[112:113], v[0:1]
	v_fma_f64 v[112:113], v[148:149], s[10:11], -v[114:115]
	v_mul_f64 v[6:7], v[8:9], s[48:49]
	v_accvgpr_write_b32 a19, v5
	s_mov_b32 s16, 0x3259b75e
	v_add_f64 v[2:3], v[112:113], v[2:3]
	v_mul_f64 v[112:113], v[110:111], s[42:43]
	v_accvgpr_write_b32 a18, v4
	v_fma_f64 v[4:5], s[10:11], v[130:131], v[4:5]
	v_accvgpr_write_b32 a21, v7
	s_mov_b32 s36, 0x7c9e640b
	s_mov_b32 s17, 0x3fb79ee6
	v_accvgpr_write_b32 a30, v114
	v_accvgpr_write_b32 a34, v112
	v_add_f64 v[4:5], v[12:13], v[4:5]
	v_accvgpr_write_b32 a20, v6
	v_fma_f64 v[6:7], v[132:133], s[10:11], -v[6:7]
	s_mov_b32 s37, 0xbfeca52d
	s_mov_b32 s28, 0x6c9a05f6
	v_accvgpr_write_b32 a31, v115
	v_mul_f64 v[114:115], v[108:109], s[42:43]
	v_accvgpr_write_b32 a35, v113
	v_fma_f64 v[112:113], s[16:17], v[146:147], v[112:113]
	v_add_f64 v[6:7], v[14:15], v[6:7]
	s_mov_b32 s2, 0x2b2883cd
	v_mul_f64 v[80:81], v[10:11], s[36:37]
	s_mov_b32 s29, 0xbfe9895b
	v_add_f64 v[4:5], v[112:113], v[4:5]
	v_fma_f64 v[112:113], v[148:149], s[16:17], -v[114:115]
	s_mov_b32 s3, 0x3fdc86fa
	v_mul_f64 v[82:83], v[8:9], s[36:37]
	v_accvgpr_write_b32 a22, v80
	s_mov_b32 s20, 0x6ed5f1bb
	v_add_f64 v[6:7], v[112:113], v[6:7]
	v_mul_f64 v[112:113], v[110:111], s[28:29]
	v_accvgpr_write_b32 a23, v81
	v_fma_f64 v[80:81], s[2:3], v[130:131], v[80:81]
	v_accvgpr_write_b32 a24, v82
	s_mov_b32 s21, 0xbfe348c8
	v_accvgpr_write_b32 a36, v114
	v_accvgpr_write_b32 a42, v112
	v_add_f64 v[80:81], v[12:13], v[80:81]
	v_accvgpr_write_b32 a25, v83
	v_fma_f64 v[82:83], v[132:133], s[2:3], -v[82:83]
	s_mov_b32 s38, 0xacd6c6b4
	v_accvgpr_write_b32 a37, v115
	v_mul_f64 v[114:115], v[108:109], s[28:29]
	v_accvgpr_write_b32 a43, v113
	v_fma_f64 v[112:113], s[20:21], v[146:147], v[112:113]
	v_add_f64 v[82:83], v[14:15], v[82:83]
	v_mul_f64 v[84:85], v[10:11], s[42:43]
	s_mov_b32 s39, 0xbfc7851a
	v_add_f64 v[80:81], v[112:113], v[80:81]
	v_fma_f64 v[112:113], v[148:149], s[20:21], -v[114:115]
	v_mul_f64 v[86:87], v[8:9], s[42:43]
	v_accvgpr_write_b32 a28, v84
	s_mov_b32 s24, 0x7faef3
	v_add_f64 v[82:83], v[112:113], v[82:83]
	v_mul_f64 v[112:113], v[110:111], s[38:39]
	v_accvgpr_write_b32 a29, v85
	v_fma_f64 v[84:85], s[16:17], v[130:131], v[84:85]
	v_accvgpr_write_b32 a32, v86
	s_mov_b32 s26, 0x923c349f
	s_mov_b32 s25, 0xbfef7484
	v_accvgpr_write_b32 a50, v114
	v_accvgpr_write_b32 a54, v112
	v_add_f64 v[84:85], v[12:13], v[84:85]
	v_accvgpr_write_b32 a33, v87
	v_fma_f64 v[86:87], v[132:133], s[16:17], -v[86:87]
	s_mov_b32 s27, 0xbfeec746
	s_mov_b32 s34, 0x4363dd80
	v_accvgpr_write_b32 a51, v115
	v_mul_f64 v[114:115], v[108:109], s[38:39]
	v_accvgpr_write_b32 a55, v113
	v_fma_f64 v[112:113], s[24:25], v[146:147], v[112:113]
	v_add_f64 v[86:87], v[14:15], v[86:87]
	s_mov_b32 s18, 0xc61f0d01
	v_mul_f64 v[88:89], v[10:11], s[26:27]
	s_mov_b32 s35, 0xbfe0d888
	v_add_f64 v[84:85], v[112:113], v[84:85]
	v_fma_f64 v[112:113], v[148:149], s[24:25], -v[114:115]
	s_mov_b32 s55, 0x3fe0d888
	s_mov_b32 s54, s34
	;; [unrolled: 1-line block ×3, first 2 shown]
	v_mul_f64 v[90:91], v[8:9], s[26:27]
	v_accvgpr_write_b32 a38, v88
	s_mov_b32 s22, 0x910ea3b9
	v_add_f64 v[86:87], v[112:113], v[86:87]
	v_mul_f64 v[112:113], v[110:111], s[54:55]
	v_accvgpr_write_b32 a39, v89
	v_fma_f64 v[88:89], s[18:19], v[130:131], v[88:89]
	v_accvgpr_write_b32 a40, v90
	s_mov_b32 s23, 0xbfeb34fa
	v_accvgpr_write_b32 a58, v114
	v_accvgpr_write_b32 a62, v112
	v_add_f64 v[88:89], v[12:13], v[88:89]
	v_accvgpr_write_b32 a41, v91
	v_fma_f64 v[90:91], v[132:133], s[18:19], -v[90:91]
	v_accvgpr_write_b32 a59, v115
	v_mul_f64 v[114:115], v[108:109], s[54:55]
	v_accvgpr_write_b32 a63, v113
	v_fma_f64 v[112:113], s[22:23], v[146:147], v[112:113]
	v_add_f64 v[90:91], v[14:15], v[90:91]
	v_mul_f64 v[92:93], v[10:11], s[28:29]
	v_add_f64 v[88:89], v[112:113], v[88:89]
	v_fma_f64 v[112:113], v[148:149], s[22:23], -v[114:115]
	s_mov_b32 s51, 0x3feec746
	s_mov_b32 s50, s26
	v_mul_f64 v[94:95], v[8:9], s[28:29]
	v_accvgpr_write_b32 a44, v92
	v_add_f64 v[90:91], v[112:113], v[90:91]
	v_mul_f64 v[112:113], v[110:111], s[50:51]
	v_accvgpr_write_b32 a45, v93
	v_fma_f64 v[92:93], s[20:21], v[130:131], v[92:93]
	v_accvgpr_write_b32 a46, v94
	v_accvgpr_write_b32 a64, v114
	;; [unrolled: 1-line block ×3, first 2 shown]
	v_add_f64 v[92:93], v[12:13], v[92:93]
	v_accvgpr_write_b32 a47, v95
	v_fma_f64 v[94:95], v[132:133], s[20:21], -v[94:95]
	v_accvgpr_write_b32 a65, v115
	v_mul_f64 v[114:115], v[108:109], s[50:51]
	v_accvgpr_write_b32 a69, v113
	v_fma_f64 v[112:113], s[18:19], v[146:147], v[112:113]
	v_add_f64 v[94:95], v[14:15], v[94:95]
	v_mul_f64 v[96:97], v[10:11], s[34:35]
	v_add_f64 v[92:93], v[112:113], v[92:93]
	v_fma_f64 v[112:113], v[148:149], s[18:19], -v[114:115]
	s_mov_b32 s31, 0x3feca52d
	s_mov_b32 s30, s36
	v_fma_f64 v[98:99], v[130:131], s[22:23], -v[96:97]
	v_accvgpr_write_b32 a72, v114
	v_add_f64 v[94:95], v[112:113], v[94:95]
	v_mul_f64 v[112:113], v[110:111], s[30:31]
	v_add_f64 v[98:99], v[12:13], v[98:99]
	v_mul_f64 v[100:101], v[8:9], s[34:35]
	v_fmac_f64_e32 v[96:97], s[22:23], v[130:131]
	v_accvgpr_write_b32 a73, v115
	v_fma_f64 v[114:115], v[146:147], s[2:3], -v[112:113]
	v_fma_f64 v[102:103], s[22:23], v[132:133], v[100:101]
	v_add_f64 v[96:97], v[12:13], v[96:97]
	v_fma_f64 v[100:101], v[132:133], s[22:23], -v[100:101]
	v_mul_f64 v[10:11], v[10:11], s[38:39]
	v_add_f64 v[98:99], v[114:115], v[98:99]
	v_mul_f64 v[114:115], v[108:109], s[30:31]
	v_fmac_f64_e32 v[112:113], s[2:3], v[146:147]
	s_mov_b32 s47, 0x3fd71e95
	s_mov_b32 s46, s40
	v_add_f64 v[100:101], v[14:15], v[100:101]
	v_fma_f64 v[104:105], v[130:131], s[24:25], -v[10:11]
	v_mul_f64 v[8:9], v[8:9], s[38:39]
	v_fmac_f64_e32 v[10:11], s[24:25], v[130:131]
	v_add_f64 v[96:97], v[112:113], v[96:97]
	v_fma_f64 v[112:113], v[148:149], s[2:3], -v[114:115]
	v_mul_f64 v[110:111], v[110:111], s[46:47]
	v_add_f64 v[104:105], v[12:13], v[104:105]
	v_fma_f64 v[106:107], s[24:25], v[132:133], v[8:9]
	v_add_f64 v[10:11], v[12:13], v[10:11]
	v_add_f64 v[100:101], v[112:113], v[100:101]
	v_fma_f64 v[112:113], v[146:147], s[0:1], -v[110:111]
	v_mul_f64 v[108:109], v[108:109], s[46:47]
	v_fmac_f64_e32 v[110:111], s[0:1], v[146:147]
	v_add_f64 v[106:107], v[14:15], v[106:107]
	v_fma_f64 v[8:9], v[132:133], s[24:25], -v[8:9]
	v_add_f64 v[104:105], v[112:113], v[104:105]
	v_fma_f64 v[112:113], s[0:1], v[148:149], v[108:109]
	v_add_f64 v[10:11], v[110:111], v[10:11]
	v_add_f64 v[110:111], v[26:27], -v[70:71]
	v_add_f64 v[8:9], v[14:15], v[8:9]
	v_add_f64 v[106:107], v[112:113], v[106:107]
	v_fma_f64 v[108:109], v[148:149], s[0:1], -v[108:109]
	v_mul_f64 v[112:113], v[110:111], s[36:37]
	v_add_f64 v[8:9], v[108:109], v[8:9]
	v_add_f64 v[168:169], v[24:25], v[68:69]
	v_add_f64 v[108:109], v[24:25], -v[68:69]
	v_accvgpr_write_b32 a48, v112
	v_fma_f64 v[116:117], s[2:3], v[148:149], v[114:115]
	v_add_f64 v[170:171], v[26:27], v[70:71]
	v_mul_f64 v[114:115], v[108:109], s[36:37]
	v_accvgpr_write_b32 a49, v113
	v_fma_f64 v[112:113], s[2:3], v[168:169], v[112:113]
	v_add_f64 v[0:1], v[112:113], v[0:1]
	v_fma_f64 v[112:113], v[170:171], s[2:3], -v[114:115]
	v_add_f64 v[2:3], v[112:113], v[2:3]
	v_mul_f64 v[112:113], v[110:111], s[28:29]
	v_accvgpr_write_b32 a52, v114
	v_accvgpr_write_b32 a56, v112
	;; [unrolled: 1-line block ×3, first 2 shown]
	v_mul_f64 v[114:115], v[108:109], s[28:29]
	v_accvgpr_write_b32 a57, v113
	v_fma_f64 v[112:113], s[20:21], v[168:169], v[112:113]
	v_add_f64 v[4:5], v[112:113], v[4:5]
	v_fma_f64 v[112:113], v[170:171], s[20:21], -v[114:115]
	s_mov_b32 s45, 0x3fc7851a
	s_mov_b32 s44, s38
	v_add_f64 v[6:7], v[112:113], v[6:7]
	v_mul_f64 v[112:113], v[110:111], s[44:45]
	v_accvgpr_write_b32 a60, v114
	v_accvgpr_write_b32 a66, v112
	;; [unrolled: 1-line block ×3, first 2 shown]
	v_mul_f64 v[114:115], v[108:109], s[44:45]
	v_accvgpr_write_b32 a67, v113
	v_fma_f64 v[112:113], s[24:25], v[168:169], v[112:113]
	v_add_f64 v[80:81], v[112:113], v[80:81]
	v_fma_f64 v[112:113], v[170:171], s[24:25], -v[114:115]
	v_add_f64 v[82:83], v[112:113], v[82:83]
	v_mul_f64 v[112:113], v[110:111], s[50:51]
	v_accvgpr_write_b32 a74, v114
	v_accvgpr_write_b32 a80, v112
	;; [unrolled: 1-line block ×3, first 2 shown]
	v_mul_f64 v[114:115], v[108:109], s[50:51]
	v_accvgpr_write_b32 a81, v113
	v_fma_f64 v[112:113], s[18:19], v[168:169], v[112:113]
	v_add_f64 v[84:85], v[112:113], v[84:85]
	v_fma_f64 v[112:113], v[170:171], s[18:19], -v[114:115]
	s_mov_b32 s45, 0x3fe58eea
	s_mov_b32 s44, s48
	v_add_f64 v[86:87], v[112:113], v[86:87]
	v_mul_f64 v[112:113], v[110:111], s[44:45]
	v_accvgpr_write_b32 a84, v114
	v_accvgpr_write_b32 a86, v112
	;; [unrolled: 1-line block ×3, first 2 shown]
	v_mul_f64 v[114:115], v[108:109], s[44:45]
	v_accvgpr_write_b32 a87, v113
	v_fma_f64 v[112:113], s[10:11], v[168:169], v[112:113]
	v_add_f64 v[88:89], v[112:113], v[88:89]
	v_fma_f64 v[112:113], v[170:171], s[10:11], -v[114:115]
	v_add_f64 v[90:91], v[112:113], v[90:91]
	v_mul_f64 v[112:113], v[110:111], s[40:41]
	v_accvgpr_write_b32 a92, v112
	v_mul_f64 v[206:207], v[108:109], s[40:41]
	v_accvgpr_write_b32 a93, v113
	v_fma_f64 v[112:113], s[0:1], v[168:169], v[112:113]
	v_add_f64 v[92:93], v[112:113], v[92:93]
	v_fma_f64 v[112:113], v[170:171], s[0:1], -v[206:207]
	v_accvgpr_write_b32 a88, v114
	v_add_f64 v[94:95], v[112:113], v[94:95]
	v_mul_f64 v[112:113], v[110:111], s[42:43]
	v_accvgpr_write_b32 a89, v115
	v_fma_f64 v[114:115], v[168:169], s[16:17], -v[112:113]
	v_add_f64 v[98:99], v[114:115], v[98:99]
	v_mul_f64 v[114:115], v[108:109], s[42:43]
	v_fmac_f64_e32 v[112:113], s[16:17], v[168:169]
	v_add_f64 v[96:97], v[112:113], v[96:97]
	v_fma_f64 v[112:113], v[170:171], s[16:17], -v[114:115]
	v_mul_f64 v[110:111], v[110:111], s[34:35]
	v_add_f64 v[100:101], v[112:113], v[100:101]
	v_fma_f64 v[112:113], v[168:169], s[22:23], -v[110:111]
	v_mul_f64 v[108:109], v[108:109], s[34:35]
	v_fmac_f64_e32 v[110:111], s[22:23], v[168:169]
	v_add_f64 v[104:105], v[112:113], v[104:105]
	v_fma_f64 v[112:113], s[22:23], v[170:171], v[108:109]
	v_add_f64 v[10:11], v[110:111], v[10:11]
	v_add_f64 v[110:111], v[30:31], -v[66:67]
	v_add_f64 v[106:107], v[112:113], v[106:107]
	v_fma_f64 v[108:109], v[170:171], s[22:23], -v[108:109]
	v_mul_f64 v[112:113], v[110:111], s[42:43]
	v_add_f64 v[102:103], v[14:15], v[102:103]
	v_add_f64 v[8:9], v[108:109], v[8:9]
	;; [unrolled: 1-line block ×3, first 2 shown]
	v_add_f64 v[108:109], v[28:29], -v[64:65]
	v_accvgpr_write_b32 a70, v112
	v_add_f64 v[102:103], v[116:117], v[102:103]
	v_fma_f64 v[116:117], s[16:17], v[170:171], v[114:115]
	v_add_f64 v[196:197], v[30:31], v[66:67]
	v_mul_f64 v[114:115], v[108:109], s[42:43]
	v_accvgpr_write_b32 a71, v113
	v_fma_f64 v[112:113], s[16:17], v[194:195], v[112:113]
	v_add_f64 v[0:1], v[112:113], v[0:1]
	v_fma_f64 v[112:113], v[196:197], s[16:17], -v[114:115]
	v_add_f64 v[2:3], v[112:113], v[2:3]
	v_mul_f64 v[112:113], v[110:111], s[38:39]
	v_accvgpr_write_b32 a76, v114
	v_accvgpr_write_b32 a78, v112
	;; [unrolled: 1-line block ×3, first 2 shown]
	v_mul_f64 v[114:115], v[108:109], s[38:39]
	v_accvgpr_write_b32 a79, v113
	v_fma_f64 v[112:113], s[24:25], v[194:195], v[112:113]
	v_add_f64 v[4:5], v[112:113], v[4:5]
	v_fma_f64 v[112:113], v[196:197], s[24:25], -v[114:115]
	v_add_f64 v[6:7], v[112:113], v[6:7]
	v_mul_f64 v[112:113], v[110:111], s[50:51]
	v_accvgpr_write_b32 a90, v112
	v_mul_f64 v[212:213], v[108:109], s[50:51]
	v_accvgpr_write_b32 a91, v113
	v_fma_f64 v[112:113], s[18:19], v[194:195], v[112:113]
	v_add_f64 v[80:81], v[112:113], v[80:81]
	v_fma_f64 v[112:113], v[196:197], s[18:19], -v[212:213]
	v_mul_f64 v[216:217], v[110:111], s[46:47]
	v_add_f64 v[82:83], v[112:113], v[82:83]
	v_mul_f64 v[222:223], v[108:109], s[46:47]
	v_fma_f64 v[112:113], s[0:1], v[194:195], v[216:217]
	v_add_f64 v[84:85], v[112:113], v[84:85]
	v_fma_f64 v[112:113], v[196:197], s[0:1], -v[222:223]
	v_mul_f64 v[224:225], v[110:111], s[36:37]
	v_add_f64 v[86:87], v[112:113], v[86:87]
	v_mul_f64 v[230:231], v[108:109], s[36:37]
	v_fma_f64 v[112:113], s[2:3], v[194:195], v[224:225]
	v_add_f64 v[88:89], v[112:113], v[88:89]
	v_fma_f64 v[112:113], v[196:197], s[2:3], -v[230:231]
	v_mul_f64 v[232:233], v[110:111], s[34:35]
	v_add_f64 v[90:91], v[112:113], v[90:91]
	v_mul_f64 v[236:237], v[108:109], s[34:35]
	v_fma_f64 v[112:113], s[22:23], v[194:195], v[232:233]
	v_add_f64 v[92:93], v[112:113], v[92:93]
	v_fma_f64 v[112:113], v[196:197], s[22:23], -v[236:237]
	s_mov_b32 s53, 0x3fe9895b
	s_mov_b32 s52, s28
	v_accvgpr_write_b32 a82, v114
	v_add_f64 v[94:95], v[112:113], v[94:95]
	v_mul_f64 v[112:113], v[110:111], s[52:53]
	v_accvgpr_write_b32 a83, v115
	v_fma_f64 v[114:115], v[194:195], s[20:21], -v[112:113]
	v_add_f64 v[98:99], v[114:115], v[98:99]
	v_mul_f64 v[114:115], v[108:109], s[52:53]
	v_fmac_f64_e32 v[112:113], s[20:21], v[194:195]
	v_add_f64 v[96:97], v[112:113], v[96:97]
	v_fma_f64 v[112:113], v[196:197], s[20:21], -v[114:115]
	v_mul_f64 v[110:111], v[110:111], s[44:45]
	v_add_f64 v[100:101], v[112:113], v[100:101]
	v_fma_f64 v[112:113], v[194:195], s[10:11], -v[110:111]
	v_mul_f64 v[108:109], v[108:109], s[44:45]
	v_fmac_f64_e32 v[110:111], s[10:11], v[194:195]
	v_add_f64 v[104:105], v[112:113], v[104:105]
	v_fma_f64 v[112:113], s[10:11], v[196:197], v[108:109]
	v_add_f64 v[10:11], v[110:111], v[10:11]
	v_fma_f64 v[108:109], v[196:197], s[10:11], -v[108:109]
	v_add_f64 v[110:111], v[34:35], -v[62:63]
	v_add_f64 v[8:9], v[108:109], v[8:9]
	v_add_f64 v[226:227], v[32:33], v[60:61]
	v_add_f64 v[108:109], v[32:33], -v[60:61]
	v_mul_f64 v[204:205], v[110:111], s[26:27]
	v_add_f64 v[106:107], v[112:113], v[106:107]
	v_add_f64 v[228:229], v[34:35], v[62:63]
	v_mul_f64 v[214:215], v[108:109], s[26:27]
	v_fma_f64 v[112:113], s[18:19], v[226:227], v[204:205]
	v_add_f64 v[0:1], v[112:113], v[0:1]
	v_fma_f64 v[112:113], v[228:229], s[18:19], -v[214:215]
	v_mul_f64 v[218:219], v[110:111], s[54:55]
	v_add_f64 v[2:3], v[112:113], v[2:3]
	v_mul_f64 v[220:221], v[108:109], s[54:55]
	v_fma_f64 v[112:113], s[22:23], v[226:227], v[218:219]
	v_add_f64 v[4:5], v[112:113], v[4:5]
	v_fma_f64 v[112:113], v[228:229], s[22:23], -v[220:221]
	v_mul_f64 v[234:235], v[110:111], s[44:45]
	;; [unrolled: 6-line block ×4, first 2 shown]
	v_add_f64 v[86:87], v[112:113], v[86:87]
	v_mul_f64 v[122:123], v[108:109], s[38:39]
	v_fma_f64 v[112:113], s[24:25], v[226:227], v[120:121]
	s_mov_b32 s37, 0x3fefdd0d
	s_mov_b32 s36, s42
	v_add_f64 v[88:89], v[112:113], v[88:89]
	v_fma_f64 v[112:113], v[228:229], s[24:25], -v[122:123]
	v_mul_f64 v[124:125], v[110:111], s[36:37]
	v_add_f64 v[90:91], v[112:113], v[90:91]
	v_mul_f64 v[128:129], v[108:109], s[36:37]
	v_fma_f64 v[112:113], s[16:17], v[226:227], v[124:125]
	v_add_f64 v[92:93], v[112:113], v[92:93]
	v_fma_f64 v[112:113], v[228:229], s[16:17], -v[128:129]
	v_add_f64 v[94:95], v[112:113], v[94:95]
	v_mul_f64 v[112:113], v[110:111], s[40:41]
	v_add_f64 v[102:103], v[116:117], v[102:103]
	v_fma_f64 v[116:117], s[20:21], v[196:197], v[114:115]
	v_fma_f64 v[114:115], v[226:227], s[0:1], -v[112:113]
	v_add_f64 v[98:99], v[114:115], v[98:99]
	v_mul_f64 v[114:115], v[108:109], s[40:41]
	v_fmac_f64_e32 v[112:113], s[0:1], v[226:227]
	v_add_f64 v[96:97], v[112:113], v[96:97]
	v_fma_f64 v[112:113], v[228:229], s[0:1], -v[114:115]
	v_mul_f64 v[110:111], v[110:111], s[28:29]
	v_add_f64 v[100:101], v[112:113], v[100:101]
	v_fma_f64 v[112:113], v[226:227], s[20:21], -v[110:111]
	v_mul_f64 v[108:109], v[108:109], s[28:29]
	v_add_f64 v[138:139], v[38:39], -v[58:59]
	v_add_f64 v[104:105], v[112:113], v[104:105]
	v_fma_f64 v[112:113], s[20:21], v[228:229], v[108:109]
	v_fma_f64 v[108:109], v[228:229], s[20:21], -v[108:109]
	v_add_f64 v[252:253], v[36:37], v[56:57]
	v_add_f64 v[134:135], v[36:37], -v[56:57]
	v_mul_f64 v[238:239], v[138:139], s[28:29]
	v_add_f64 v[8:9], v[108:109], v[8:9]
	v_add_f64 v[254:255], v[38:39], v[58:59]
	v_mul_f64 v[242:243], v[134:135], s[28:29]
	v_fma_f64 v[108:109], s[20:21], v[252:253], v[238:239]
	v_add_f64 v[0:1], v[108:109], v[0:1]
	v_fma_f64 v[108:109], v[254:255], s[20:21], -v[242:243]
	v_mul_f64 v[246:247], v[138:139], s[50:51]
	v_add_f64 v[2:3], v[108:109], v[2:3]
	v_mul_f64 v[250:251], v[134:135], s[50:51]
	v_fma_f64 v[108:109], s[18:19], v[252:253], v[246:247]
	v_add_f64 v[4:5], v[108:109], v[4:5]
	v_fma_f64 v[108:109], v[254:255], s[18:19], -v[250:251]
	v_mul_f64 v[126:127], v[138:139], s[40:41]
	v_add_f64 v[102:103], v[116:117], v[102:103]
	v_fma_f64 v[116:117], s[0:1], v[228:229], v[114:115]
	v_add_f64 v[6:7], v[108:109], v[6:7]
	v_mul_f64 v[136:137], v[134:135], s[40:41]
	v_fma_f64 v[108:109], s[0:1], v[252:253], v[126:127]
	v_add_f64 v[102:103], v[116:117], v[102:103]
	v_add_f64 v[80:81], v[108:109], v[80:81]
	v_fma_f64 v[108:109], v[254:255], s[0:1], -v[136:137]
	v_mul_f64 v[116:117], v[138:139], s[34:35]
	v_add_f64 v[82:83], v[108:109], v[82:83]
	v_mul_f64 v[118:119], v[134:135], s[34:35]
	v_fma_f64 v[108:109], s[22:23], v[252:253], v[116:117]
	v_add_f64 v[106:107], v[112:113], v[106:107]
	v_add_f64 v[84:85], v[108:109], v[84:85]
	v_fma_f64 v[108:109], v[254:255], s[22:23], -v[118:119]
	v_mul_f64 v[112:113], v[138:139], s[36:37]
	v_add_f64 v[86:87], v[108:109], v[86:87]
	v_mul_f64 v[114:115], v[134:135], s[36:37]
	v_fma_f64 v[108:109], s[16:17], v[252:253], v[112:113]
	v_add_f64 v[88:89], v[108:109], v[88:89]
	v_fma_f64 v[108:109], v[254:255], s[16:17], -v[114:115]
	v_fmac_f64_e32 v[110:111], s[20:21], v[226:227]
	v_add_f64 v[90:91], v[108:109], v[90:91]
	v_mul_f64 v[108:109], v[138:139], s[48:49]
	v_add_f64 v[10:11], v[110:111], v[10:11]
	v_mul_f64 v[110:111], v[134:135], s[48:49]
	v_fma_f64 v[140:141], s[10:11], v[252:253], v[108:109]
	v_add_f64 v[92:93], v[140:141], v[92:93]
	v_fma_f64 v[140:141], v[254:255], s[10:11], -v[110:111]
	v_add_f64 v[94:95], v[140:141], v[94:95]
	v_mul_f64 v[140:141], v[138:139], s[38:39]
	v_fma_f64 v[142:143], v[252:253], s[24:25], -v[140:141]
	v_add_f64 v[98:99], v[142:143], v[98:99]
	v_mul_f64 v[142:143], v[134:135], s[38:39]
	v_fmac_f64_e32 v[140:141], s[24:25], v[252:253]
	v_add_f64 v[96:97], v[140:141], v[96:97]
	v_fma_f64 v[140:141], v[254:255], s[24:25], -v[142:143]
	v_mul_f64 v[138:139], v[138:139], s[30:31]
	v_add_f64 v[100:101], v[140:141], v[100:101]
	v_fma_f64 v[140:141], v[252:253], s[2:3], -v[138:139]
	v_mul_f64 v[134:135], v[134:135], s[30:31]
	v_fmac_f64_e32 v[138:139], s[2:3], v[252:253]
	v_add_f64 v[162:163], v[42:43], -v[54:55]
	v_fma_f64 v[144:145], s[24:25], v[254:255], v[142:143]
	v_add_f64 v[152:153], v[138:139], v[10:11]
	v_fma_f64 v[10:11], v[254:255], s[2:3], -v[134:135]
	v_add_f64 v[142:143], v[40:41], v[52:53]
	v_add_f64 v[160:161], v[40:41], -v[52:53]
	v_mul_f64 v[210:211], v[162:163], s[34:35]
	v_add_f64 v[102:103], v[144:145], v[102:103]
	v_add_f64 v[104:105], v[140:141], v[104:105]
	v_fma_f64 v[140:141], s[2:3], v[254:255], v[134:135]
	v_add_f64 v[154:155], v[10:11], v[8:9]
	v_add_f64 v[144:145], v[42:43], v[54:55]
	v_mul_f64 v[134:135], v[160:161], s[34:35]
	v_fma_f64 v[8:9], s[22:23], v[142:143], v[210:211]
	v_add_f64 v[166:167], v[8:9], v[0:1]
	v_fma_f64 v[0:1], v[144:145], s[22:23], -v[134:135]
	v_mul_f64 v[138:139], v[162:163], s[30:31]
	v_add_f64 v[106:107], v[140:141], v[106:107]
	v_add_f64 v[174:175], v[0:1], v[2:3]
	v_mul_f64 v[140:141], v[160:161], s[30:31]
	v_fma_f64 v[0:1], s[2:3], v[142:143], v[138:139]
	v_add_f64 v[182:183], v[0:1], v[4:5]
	v_fma_f64 v[0:1], v[144:145], s[2:3], -v[140:141]
	v_mul_f64 v[150:151], v[162:163], s[42:43]
	v_add_f64 v[184:185], v[0:1], v[6:7]
	v_mul_f64 v[156:157], v[160:161], s[42:43]
	v_fma_f64 v[0:1], s[16:17], v[142:143], v[150:151]
	v_mul_f64 v[178:179], v[162:163], s[38:39]
	v_add_f64 v[8:9], v[0:1], v[80:81]
	v_fma_f64 v[0:1], v[144:145], s[16:17], -v[156:157]
	v_mul_f64 v[158:159], v[162:163], s[52:53]
	v_mul_f64 v[180:181], v[160:161], s[38:39]
	v_fma_f64 v[80:81], s[24:25], v[142:143], v[178:179]
	v_add_f64 v[10:11], v[0:1], v[82:83]
	v_mul_f64 v[164:165], v[160:161], s[52:53]
	v_fma_f64 v[0:1], s[20:21], v[142:143], v[158:159]
	v_add_f64 v[92:93], v[80:81], v[92:93]
	v_fma_f64 v[80:81], v[144:145], s[24:25], -v[180:181]
	v_add_f64 v[6:7], v[0:1], v[84:85]
	v_fma_f64 v[0:1], v[144:145], s[20:21], -v[164:165]
	v_mul_f64 v[172:173], v[162:163], s[40:41]
	v_add_f64 v[94:95], v[80:81], v[94:95]
	v_mul_f64 v[80:81], v[162:163], s[44:45]
	v_add_f64 v[4:5], v[0:1], v[86:87]
	v_fma_f64 v[0:1], s[0:1], v[142:143], v[172:173]
	v_fma_f64 v[82:83], v[142:143], s[10:11], -v[80:81]
	v_add_f64 v[2:3], v[0:1], v[88:89]
	v_add_f64 v[88:89], v[82:83], v[98:99]
	v_mul_f64 v[82:83], v[160:161], s[44:45]
	v_fmac_f64_e32 v[80:81], s[10:11], v[142:143]
	v_add_f64 v[96:97], v[80:81], v[96:97]
	v_fma_f64 v[80:81], v[144:145], s[10:11], -v[82:83]
	v_add_f64 v[98:99], v[80:81], v[100:101]
	v_mul_f64 v[80:81], v[162:163], s[26:27]
	v_mul_f64 v[176:177], v[160:161], s[40:41]
	v_fma_f64 v[84:85], s[10:11], v[144:145], v[82:83]
	v_fma_f64 v[82:83], v[142:143], s[18:19], -v[80:81]
	v_fma_f64 v[0:1], v[144:145], s[0:1], -v[176:177]
	v_add_f64 v[100:101], v[82:83], v[104:105]
	v_mul_f64 v[82:83], v[160:161], s[26:27]
	v_fmac_f64_e32 v[80:81], s[18:19], v[142:143]
	v_add_f64 v[192:193], v[46:47], -v[50:51]
	v_add_f64 v[0:1], v[0:1], v[90:91]
	v_add_f64 v[90:91], v[84:85], v[102:103]
	v_fma_f64 v[84:85], s[18:19], v[144:145], v[82:83]
	v_add_f64 v[104:105], v[80:81], v[152:153]
	v_fma_f64 v[80:81], v[144:145], s[18:19], -v[82:83]
	v_add_f64 v[160:161], v[44:45], v[48:49]
	v_add_f64 v[190:191], v[44:45], -v[48:49]
	v_mul_f64 v[152:153], v[192:193], s[38:39]
	v_add_f64 v[102:103], v[84:85], v[106:107]
	v_add_f64 v[106:107], v[80:81], v[154:155]
	;; [unrolled: 1-line block ×3, first 2 shown]
	v_mul_f64 v[154:155], v[190:191], s[38:39]
	v_fma_f64 v[80:81], s[24:25], v[160:161], v[152:153]
	v_add_f64 v[82:83], v[80:81], v[166:167]
	v_fma_f64 v[80:81], v[162:163], s[24:25], -v[154:155]
	v_mul_f64 v[166:167], v[192:193], s[46:47]
	v_add_f64 v[84:85], v[80:81], v[174:175]
	v_accvgpr_write_b32 a2, v82
	v_mul_f64 v[174:175], v[190:191], s[46:47]
	v_fma_f64 v[80:81], s[0:1], v[160:161], v[166:167]
	v_accvgpr_write_b32 a3, v83
	v_accvgpr_write_b32 a4, v84
	;; [unrolled: 1-line block ×3, first 2 shown]
	v_add_f64 v[82:83], v[80:81], v[182:183]
	v_fma_f64 v[80:81], v[162:163], s[0:1], -v[174:175]
	v_mul_f64 v[182:183], v[192:193], s[34:35]
	v_add_f64 v[84:85], v[80:81], v[184:185]
	v_mul_f64 v[184:185], v[190:191], s[34:35]
	v_fma_f64 v[80:81], s[22:23], v[160:161], v[182:183]
	v_add_f64 v[8:9], v[80:81], v[8:9]
	v_fma_f64 v[80:81], v[162:163], s[22:23], -v[184:185]
	v_mul_f64 v[186:187], v[192:193], s[44:45]
	v_add_f64 v[10:11], v[80:81], v[10:11]
	v_mul_f64 v[188:189], v[190:191], s[44:45]
	v_fma_f64 v[80:81], s[10:11], v[160:161], v[186:187]
	v_accvgpr_write_b32 a6, v82
	v_add_f64 v[80:81], v[80:81], v[6:7]
	v_fma_f64 v[6:7], v[162:163], s[10:11], -v[188:189]
	v_mul_f64 v[198:199], v[192:193], s[28:29]
	v_accvgpr_write_b32 a7, v83
	v_accvgpr_write_b32 a8, v84
	;; [unrolled: 1-line block ×3, first 2 shown]
	v_add_f64 v[82:83], v[6:7], v[4:5]
	v_mul_f64 v[200:201], v[190:191], s[28:29]
	v_fma_f64 v[4:5], s[20:21], v[160:161], v[198:199]
	v_add_f64 v[84:85], v[4:5], v[2:3]
	v_fma_f64 v[2:3], v[162:163], s[20:21], -v[200:201]
	v_mul_f64 v[202:203], v[192:193], s[30:31]
	v_add_f64 v[86:87], v[2:3], v[0:1]
	v_mul_f64 v[0:1], v[190:191], s[30:31]
	v_fma_f64 v[2:3], s[2:3], v[160:161], v[202:203]
	v_add_f64 v[92:93], v[2:3], v[92:93]
	v_fma_f64 v[2:3], v[162:163], s[2:3], -v[0:1]
	v_add_f64 v[94:95], v[2:3], v[94:95]
	v_mul_f64 v[2:3], v[192:193], s[26:27]
	v_fma_f64 v[4:5], v[160:161], s[18:19], -v[2:3]
	v_add_f64 v[88:89], v[4:5], v[88:89]
	v_mul_f64 v[4:5], v[190:191], s[26:27]
	v_fmac_f64_e32 v[2:3], s[18:19], v[160:161]
	v_add_f64 v[96:97], v[2:3], v[96:97]
	v_fma_f64 v[2:3], v[162:163], s[18:19], -v[4:5]
	v_add_f64 v[98:99], v[2:3], v[98:99]
	v_mul_f64 v[2:3], v[192:193], s[36:37]
	v_fma_f64 v[6:7], s[18:19], v[162:163], v[4:5]
	v_fma_f64 v[4:5], v[160:161], s[16:17], -v[2:3]
	v_add_f64 v[100:101], v[4:5], v[100:101]
	v_mul_f64 v[4:5], v[190:191], s[36:37]
	v_fmac_f64_e32 v[2:3], s[16:17], v[160:161]
	v_accvgpr_write_b32 a13, v11
	v_add_f64 v[90:91], v[6:7], v[90:91]
	v_fma_f64 v[6:7], s[16:17], v[162:163], v[4:5]
	v_add_f64 v[104:105], v[2:3], v[104:105]
	v_fma_f64 v[2:3], v[162:163], s[16:17], -v[4:5]
	v_accvgpr_write_b32 a12, v10
	v_accvgpr_write_b32 a11, v9
	;; [unrolled: 1-line block ×3, first 2 shown]
	v_add_f64 v[102:103], v[6:7], v[102:103]
	v_add_f64 v[106:107], v[2:3], v[106:107]
	v_mul_lo_u16_e32 v192, 17, v209
	s_waitcnt lgkmcnt(0)
	s_barrier
	s_and_saveexec_b64 s[26:27], s[4:5]
	s_cbranch_execz .LBB0_7
; %bb.6:
	v_mul_f64 v[2:3], v[162:163], s[2:3]
	v_add_f64 v[0:1], v[0:1], v[2:3]
	v_mul_f64 v[2:3], v[144:145], s[24:25]
	v_accvgpr_read_b32 v8, a72
	v_add_f64 v[2:3], v[180:181], v[2:3]
	v_mul_f64 v[180:181], v[148:149], s[18:19]
	v_accvgpr_read_b32 v9, a73
	v_add_f64 v[180:181], v[8:9], v[180:181]
	v_accvgpr_read_b32 v8, a46
	v_mul_f64 v[190:191], v[132:133], s[20:21]
	v_accvgpr_read_b32 v9, a47
	v_mul_f64 v[6:7], v[228:229], s[16:17]
	v_add_f64 v[190:191], v[8:9], v[190:191]
	v_mul_f64 v[4:5], v[254:255], s[10:11]
	v_add_f64 v[6:7], v[128:129], v[6:7]
	;; [unrolled: 2-line block ×3, first 2 shown]
	v_add_f64 v[4:5], v[110:111], v[4:5]
	v_mul_f64 v[110:111], v[196:197], s[22:23]
	v_add_f64 v[128:129], v[206:207], v[128:129]
	v_add_f64 v[180:181], v[180:181], v[190:191]
	;; [unrolled: 1-line block ×5, first 2 shown]
	v_accvgpr_read_b32 v8, a92
	v_add_f64 v[6:7], v[6:7], v[110:111]
	v_mul_f64 v[128:129], v[168:169], s[0:1]
	v_accvgpr_read_b32 v9, a93
	v_add_f64 v[4:5], v[4:5], v[6:7]
	v_mul_f64 v[6:7], v[142:143], s[24:25]
	v_add_f64 v[128:129], v[128:129], -v[8:9]
	v_accvgpr_read_b32 v8, a68
	v_add_f64 v[6:7], v[6:7], -v[178:179]
	v_mul_f64 v[178:179], v[146:147], s[18:19]
	v_accvgpr_read_b32 v9, a69
	v_add_f64 v[178:179], v[178:179], -v[8:9]
	v_accvgpr_read_b32 v8, a44
	v_mul_f64 v[180:181], v[130:131], s[20:21]
	v_accvgpr_read_b32 v9, a45
	v_mul_f64 v[110:111], v[252:253], s[10:11]
	v_add_f64 v[180:181], v[180:181], -v[8:9]
	v_add_f64 v[108:109], v[110:111], -v[108:109]
	v_mul_f64 v[110:111], v[226:227], s[16:17]
	v_add_f64 v[180:181], v[12:13], v[180:181]
	v_add_f64 v[110:111], v[110:111], -v[124:125]
	v_mul_f64 v[124:125], v[194:195], s[22:23]
	v_add_f64 v[178:179], v[178:179], v[180:181]
	v_add_f64 v[124:125], v[124:125], -v[232:233]
	v_add_f64 v[128:129], v[128:129], v[178:179]
	v_add_f64 v[124:125], v[124:125], v[128:129]
	;; [unrolled: 1-line block ×4, first 2 shown]
	v_mul_f64 v[4:5], v[160:161], s[2:3]
	v_add_f64 v[108:109], v[108:109], v[110:111]
	v_add_f64 v[4:5], v[4:5], -v[202:203]
	v_add_f64 v[6:7], v[6:7], v[108:109]
	v_add_f64 v[108:109], v[4:5], v[6:7]
	v_mul_f64 v[6:7], v[228:229], s[24:25]
	v_accvgpr_read_b32 v8, a88
	v_add_f64 v[6:7], v[122:123], v[6:7]
	v_mul_f64 v[122:123], v[170:171], s[10:11]
	v_accvgpr_read_b32 v9, a89
	v_add_f64 v[122:123], v[8:9], v[122:123]
	v_accvgpr_read_b32 v8, a64
	v_mul_f64 v[124:125], v[148:149], s[22:23]
	v_accvgpr_read_b32 v9, a65
	v_add_f64 v[124:125], v[8:9], v[124:125]
	v_accvgpr_read_b32 v8, a40
	v_mul_f64 v[128:129], v[132:133], s[18:19]
	v_accvgpr_read_b32 v9, a41
	v_add_f64 v[128:129], v[8:9], v[128:129]
	v_mul_f64 v[4:5], v[254:255], s[16:17]
	v_add_f64 v[128:129], v[14:15], v[128:129]
	v_add_f64 v[4:5], v[114:115], v[4:5]
	v_mul_f64 v[114:115], v[196:197], s[2:3]
	v_add_f64 v[124:125], v[124:125], v[128:129]
	v_add_f64 v[114:115], v[230:231], v[114:115]
	;; [unrolled: 1-line block ×3, first 2 shown]
	v_accvgpr_read_b32 v8, a86
	v_add_f64 v[114:115], v[114:115], v[122:123]
	v_mul_f64 v[122:123], v[168:169], s[10:11]
	v_accvgpr_read_b32 v9, a87
	v_add_f64 v[122:123], v[122:123], -v[8:9]
	v_accvgpr_read_b32 v8, a62
	v_mul_f64 v[124:125], v[146:147], s[22:23]
	v_accvgpr_read_b32 v9, a63
	v_add_f64 v[124:125], v[124:125], -v[8:9]
	v_accvgpr_read_b32 v8, a38
	v_mul_f64 v[128:129], v[130:131], s[18:19]
	v_accvgpr_read_b32 v9, a39
	v_add_f64 v[6:7], v[6:7], v[114:115]
	v_mul_f64 v[114:115], v[252:253], s[16:17]
	v_add_f64 v[128:129], v[128:129], -v[8:9]
	v_add_f64 v[112:113], v[114:115], -v[112:113]
	v_mul_f64 v[114:115], v[226:227], s[24:25]
	v_add_f64 v[128:129], v[12:13], v[128:129]
	v_add_f64 v[114:115], v[114:115], -v[120:121]
	v_mul_f64 v[120:121], v[194:195], s[2:3]
	v_add_f64 v[124:125], v[124:125], v[128:129]
	v_add_f64 v[120:121], v[120:121], -v[224:225]
	v_add_f64 v[122:123], v[122:123], v[124:125]
	v_add_f64 v[120:121], v[120:121], v[122:123]
	v_accvgpr_read_b32 v8, a84
	v_add_f64 v[114:115], v[114:115], v[120:121]
	v_mul_f64 v[120:121], v[170:171], s[18:19]
	v_accvgpr_read_b32 v9, a85
	v_add_f64 v[120:121], v[8:9], v[120:121]
	v_accvgpr_read_b32 v8, a58
	v_mul_f64 v[122:123], v[148:149], s[24:25]
	v_accvgpr_read_b32 v9, a59
	v_add_f64 v[122:123], v[8:9], v[122:123]
	v_accvgpr_read_b32 v8, a32
	v_mul_f64 v[124:125], v[132:133], s[16:17]
	v_accvgpr_read_b32 v9, a33
	v_add_f64 v[124:125], v[8:9], v[124:125]
	v_add_f64 v[124:125], v[14:15], v[124:125]
	;; [unrolled: 1-line block ×3, first 2 shown]
	v_accvgpr_read_b32 v8, a80
	v_add_f64 v[110:111], v[0:1], v[2:3]
	v_mul_f64 v[2:3], v[144:145], s[0:1]
	v_add_f64 v[120:121], v[120:121], v[122:123]
	v_mul_f64 v[122:123], v[168:169], s[18:19]
	v_accvgpr_read_b32 v9, a81
	v_add_f64 v[2:3], v[176:177], v[2:3]
	v_add_f64 v[4:5], v[4:5], v[6:7]
	v_mul_f64 v[6:7], v[142:143], s[0:1]
	v_add_f64 v[122:123], v[122:123], -v[8:9]
	v_accvgpr_read_b32 v8, a54
	v_add_f64 v[2:3], v[2:3], v[4:5]
	v_mul_f64 v[4:5], v[160:161], s[20:21]
	v_add_f64 v[6:7], v[6:7], -v[172:173]
	v_add_f64 v[112:113], v[112:113], v[114:115]
	v_mul_f64 v[124:125], v[146:147], s[24:25]
	v_accvgpr_read_b32 v9, a55
	v_add_f64 v[4:5], v[4:5], -v[198:199]
	v_add_f64 v[6:7], v[6:7], v[112:113]
	v_add_f64 v[124:125], v[124:125], -v[8:9]
	v_accvgpr_read_b32 v8, a28
	v_add_f64 v[112:113], v[4:5], v[6:7]
	v_mul_f64 v[4:5], v[254:255], s[22:23]
	v_mul_f64 v[128:129], v[130:131], s[16:17]
	v_accvgpr_read_b32 v9, a29
	v_add_f64 v[4:5], v[118:119], v[4:5]
	v_mul_f64 v[118:119], v[196:197], s[0:1]
	v_add_f64 v[128:129], v[128:129], -v[8:9]
	v_add_f64 v[118:119], v[222:223], v[118:119]
	v_add_f64 v[128:129], v[12:13], v[128:129]
	;; [unrolled: 1-line block ×3, first 2 shown]
	v_mul_f64 v[120:121], v[194:195], s[0:1]
	v_add_f64 v[124:125], v[124:125], v[128:129]
	v_add_f64 v[120:121], v[120:121], -v[216:217]
	v_add_f64 v[122:123], v[122:123], v[124:125]
	v_accvgpr_read_b32 v8, a74
	v_add_f64 v[120:121], v[120:121], v[122:123]
	v_mul_f64 v[122:123], v[170:171], s[24:25]
	v_accvgpr_read_b32 v9, a75
	v_mul_f64 v[6:7], v[228:229], s[2:3]
	v_add_f64 v[122:123], v[8:9], v[122:123]
	v_accvgpr_read_b32 v8, a50
	v_add_f64 v[6:7], v[248:249], v[6:7]
	v_mul_f64 v[124:125], v[148:149], s[20:21]
	v_accvgpr_read_b32 v9, a51
	v_mul_f64 v[0:1], v[162:163], s[20:21]
	v_add_f64 v[6:7], v[6:7], v[118:119]
	v_mul_f64 v[118:119], v[252:253], s[22:23]
	v_add_f64 v[124:125], v[8:9], v[124:125]
	v_accvgpr_read_b32 v8, a24
	v_add_f64 v[0:1], v[200:201], v[0:1]
	v_add_f64 v[116:117], v[118:119], -v[116:117]
	v_mul_f64 v[118:119], v[226:227], s[2:3]
	v_mul_f64 v[128:129], v[132:133], s[2:3]
	v_accvgpr_read_b32 v9, a25
	v_add_f64 v[114:115], v[0:1], v[2:3]
	v_mul_f64 v[2:3], v[144:145], s[20:21]
	v_add_f64 v[4:5], v[4:5], v[6:7]
	v_mul_f64 v[6:7], v[142:143], s[20:21]
	v_add_f64 v[118:119], v[118:119], -v[244:245]
	v_add_f64 v[128:129], v[8:9], v[128:129]
	v_accvgpr_read_b32 v8, a90
	v_add_f64 v[2:3], v[164:165], v[2:3]
	v_add_f64 v[6:7], v[6:7], -v[158:159]
	v_add_f64 v[118:119], v[118:119], v[120:121]
	v_mul_f64 v[158:159], v[194:195], s[18:19]
	v_accvgpr_read_b32 v9, a91
	v_mul_f64 v[0:1], v[162:163], s[10:11]
	v_add_f64 v[2:3], v[2:3], v[4:5]
	v_mul_f64 v[4:5], v[160:161], s[10:11]
	v_add_f64 v[116:117], v[116:117], v[118:119]
	v_add_f64 v[128:129], v[14:15], v[128:129]
	v_add_f64 v[158:159], v[158:159], -v[8:9]
	v_accvgpr_read_b32 v8, a66
	v_add_f64 v[0:1], v[188:189], v[0:1]
	v_add_f64 v[4:5], v[4:5], -v[186:187]
	v_add_f64 v[6:7], v[6:7], v[116:117]
	v_mul_f64 v[120:121], v[196:197], s[18:19]
	v_add_f64 v[124:125], v[124:125], v[128:129]
	v_mul_f64 v[164:165], v[168:169], s[24:25]
	v_accvgpr_read_b32 v9, a67
	v_add_f64 v[118:119], v[0:1], v[2:3]
	v_add_f64 v[116:117], v[4:5], v[6:7]
	v_mul_f64 v[2:3], v[144:145], s[16:17]
	v_mul_f64 v[6:7], v[228:229], s[10:11]
	v_add_f64 v[120:121], v[212:213], v[120:121]
	v_add_f64 v[122:123], v[122:123], v[124:125]
	v_add_f64 v[164:165], v[164:165], -v[8:9]
	v_accvgpr_read_b32 v8, a42
	v_add_f64 v[2:3], v[156:157], v[2:3]
	v_mul_f64 v[4:5], v[254:255], s[0:1]
	v_add_f64 v[6:7], v[240:241], v[6:7]
	v_add_f64 v[120:121], v[120:121], v[122:123]
	v_mul_f64 v[156:157], v[146:147], s[10:11]
	v_mul_f64 v[122:123], v[146:147], s[16:17]
	;; [unrolled: 1-line block ×3, first 2 shown]
	v_accvgpr_read_b32 v9, a43
	v_add_f64 v[4:5], v[136:137], v[4:5]
	v_add_f64 v[6:7], v[6:7], v[120:121]
	v_add_f64 v[146:147], v[146:147], -v[8:9]
	v_accvgpr_read_b32 v8, a22
	v_mul_f64 v[136:137], v[130:131], s[0:1]
	v_mul_f64 v[124:125], v[130:131], s[10:11]
	v_mul_f64 v[130:131], v[130:131], s[2:3]
	v_add_f64 v[4:5], v[4:5], v[6:7]
	v_accvgpr_read_b32 v9, a23
	v_add_f64 v[2:3], v[2:3], v[4:5]
	v_mul_f64 v[4:5], v[160:161], s[22:23]
	v_add_f64 v[130:131], v[130:131], -v[8:9]
	v_accvgpr_read_b32 v8, a82
	v_add_f64 v[4:5], v[4:5], -v[182:183]
	v_mul_f64 v[182:183], v[196:197], s[24:25]
	v_accvgpr_read_b32 v9, a83
	v_add_f64 v[182:183], v[8:9], v[182:183]
	v_accvgpr_read_b32 v8, a60
	v_mul_f64 v[176:177], v[170:171], s[2:3]
	v_mul_f64 v[170:171], v[170:171], s[20:21]
	v_accvgpr_read_b32 v9, a61
	v_add_f64 v[170:171], v[8:9], v[170:171]
	v_accvgpr_read_b32 v8, a36
	v_mul_f64 v[120:121], v[148:149], s[10:11]
	v_mul_f64 v[6:7], v[148:149], s[16:17]
	;; [unrolled: 1-line block ×3, first 2 shown]
	v_add_f64 v[130:131], v[12:13], v[130:131]
	v_accvgpr_read_b32 v9, a37
	v_add_f64 v[148:149], v[148:149], -v[150:151]
	v_mul_f64 v[150:151], v[252:253], s[0:1]
	v_add_f64 v[130:131], v[146:147], v[130:131]
	v_add_f64 v[6:7], v[8:9], v[6:7]
	v_accvgpr_read_b32 v8, a20
	v_mul_f64 v[128:129], v[132:133], s[0:1]
	v_mul_f64 v[132:133], v[132:133], s[10:11]
	v_add_f64 v[126:127], v[150:151], -v[126:127]
	v_mul_f64 v[150:151], v[226:227], s[10:11]
	v_add_f64 v[130:131], v[164:165], v[130:131]
	v_accvgpr_read_b32 v9, a21
	v_add_f64 v[150:151], v[150:151], -v[234:235]
	v_add_f64 v[130:131], v[158:159], v[130:131]
	v_add_f64 v[132:133], v[8:9], v[132:133]
	;; [unrolled: 1-line block ×4, first 2 shown]
	v_mul_f64 v[0:1], v[162:163], s[22:23]
	v_add_f64 v[126:127], v[126:127], v[130:131]
	v_add_f64 v[6:7], v[6:7], v[132:133]
	v_add_f64 v[0:1], v[184:185], v[0:1]
	v_mul_f64 v[186:187], v[228:229], s[22:23]
	v_add_f64 v[126:127], v[148:149], v[126:127]
	v_add_f64 v[6:7], v[170:171], v[6:7]
	v_mul_f64 v[190:191], v[254:255], s[18:19]
	v_mul_f64 v[148:149], v[142:143], s[22:23]
	v_add_f64 v[2:3], v[0:1], v[2:3]
	v_add_f64 v[0:1], v[4:5], v[126:127]
	v_mul_f64 v[4:5], v[142:143], s[2:3]
	v_mul_f64 v[142:143], v[144:145], s[2:3]
	v_add_f64 v[186:187], v[220:221], v[186:187]
	v_add_f64 v[6:7], v[182:183], v[6:7]
	v_accvgpr_read_b32 v8, a78
	v_mul_f64 v[180:181], v[194:195], s[24:25]
	v_add_f64 v[140:141], v[140:141], v[142:143]
	v_add_f64 v[142:143], v[250:251], v[190:191]
	;; [unrolled: 1-line block ×3, first 2 shown]
	v_accvgpr_read_b32 v9, a79
	v_mul_f64 v[126:127], v[144:145], s[22:23]
	v_mul_f64 v[144:145], v[162:163], s[0:1]
	v_add_f64 v[6:7], v[142:143], v[6:7]
	v_add_f64 v[142:143], v[180:181], -v[8:9]
	v_accvgpr_read_b32 v8, a56
	v_mul_f64 v[172:173], v[168:169], s[2:3]
	v_mul_f64 v[168:169], v[168:169], s[20:21]
	v_add_f64 v[144:145], v[174:175], v[144:145]
	v_add_f64 v[6:7], v[140:141], v[6:7]
	v_accvgpr_read_b32 v9, a57
	v_add_f64 v[6:7], v[144:145], v[6:7]
	v_add_f64 v[144:145], v[168:169], -v[8:9]
	v_accvgpr_read_b32 v8, a34
	v_accvgpr_read_b32 v9, a35
	v_add_f64 v[122:123], v[122:123], -v[8:9]
	v_accvgpr_read_b32 v8, a18
	v_accvgpr_read_b32 v9, a19
	v_add_f64 v[124:125], v[124:125], -v[8:9]
	v_add_f64 v[124:125], v[12:13], v[124:125]
	v_add_f64 v[122:123], v[122:123], v[124:125]
	v_mul_f64 v[184:185], v[226:227], s[22:23]
	v_add_f64 v[122:123], v[144:145], v[122:123]
	v_mul_f64 v[188:189], v[252:253], s[18:19]
	v_add_f64 v[140:141], v[184:185], -v[218:219]
	v_add_f64 v[122:123], v[142:143], v[122:123]
	v_add_f64 v[4:5], v[4:5], -v[138:139]
	v_add_f64 v[138:139], v[188:189], -v[246:247]
	v_add_f64 v[122:123], v[140:141], v[122:123]
	v_mul_f64 v[174:175], v[160:161], s[24:25]
	v_mul_f64 v[160:161], v[160:161], s[0:1]
	v_add_f64 v[122:123], v[138:139], v[122:123]
	v_accvgpr_read_b32 v8, a76
	v_mul_f64 v[146:147], v[196:197], s[16:17]
	v_add_f64 v[132:133], v[160:161], -v[166:167]
	v_add_f64 v[4:5], v[4:5], v[122:123]
	v_accvgpr_read_b32 v9, a77
	v_add_f64 v[4:5], v[132:133], v[4:5]
	v_add_f64 v[132:133], v[8:9], v[146:147]
	v_accvgpr_read_b32 v8, a52
	v_accvgpr_read_b32 v9, a53
	v_add_f64 v[124:125], v[134:135], v[126:127]
	v_add_f64 v[134:135], v[8:9], v[176:177]
	v_accvgpr_read_b32 v8, a30
	v_accvgpr_read_b32 v9, a31
	v_add_f64 v[120:121], v[8:9], v[120:121]
	v_accvgpr_read_b32 v8, a16
	v_accvgpr_read_b32 v9, a17
	v_add_f64 v[128:129], v[8:9], v[128:129]
	v_add_f64 v[128:129], v[14:15], v[128:129]
	;; [unrolled: 1-line block ×3, first 2 shown]
	v_mul_f64 v[158:159], v[228:229], s[18:19]
	v_mul_f64 v[130:131], v[254:255], s[20:21]
	v_add_f64 v[120:121], v[134:135], v[120:121]
	v_accvgpr_read_b32 v8, a70
	v_mul_f64 v[178:179], v[194:195], s[16:17]
	v_add_f64 v[126:127], v[242:243], v[130:131]
	v_add_f64 v[130:131], v[214:215], v[158:159]
	;; [unrolled: 1-line block ×3, first 2 shown]
	v_accvgpr_read_b32 v9, a71
	v_add_f64 v[120:121], v[130:131], v[120:121]
	v_add_f64 v[130:131], v[178:179], -v[8:9]
	v_accvgpr_read_b32 v8, a48
	v_accvgpr_read_b32 v9, a49
	v_add_f64 v[132:133], v[172:173], -v[8:9]
	v_accvgpr_read_b32 v8, a26
	v_accvgpr_read_b32 v9, a27
	;; [unrolled: 3-line block ×3, first 2 shown]
	v_add_f64 v[136:137], v[136:137], -v[8:9]
	v_add_f64 v[136:137], v[12:13], v[136:137]
	v_add_f64 v[14:15], v[14:15], v[18:19]
	;; [unrolled: 1-line block ×24, first 2 shown]
	v_mul_f64 v[164:165], v[226:227], s[18:19]
	v_add_f64 v[132:133], v[132:133], v[134:135]
	v_add_f64 v[14:15], v[14:15], v[62:63]
	;; [unrolled: 1-line block ×3, first 2 shown]
	v_mul_f64 v[150:151], v[252:253], s[20:21]
	v_add_f64 v[128:129], v[164:165], -v[204:205]
	v_add_f64 v[130:131], v[130:131], v[132:133]
	v_add_f64 v[14:15], v[14:15], v[66:67]
	;; [unrolled: 1-line block ×3, first 2 shown]
	v_mul_f64 v[162:163], v[162:163], s[24:25]
	v_add_f64 v[120:121], v[126:127], v[120:121]
	v_add_f64 v[126:127], v[150:151], -v[238:239]
	v_add_f64 v[128:129], v[128:129], v[130:131]
	v_add_f64 v[14:15], v[14:15], v[70:71]
	;; [unrolled: 1-line block ×5, first 2 shown]
	v_add_f64 v[124:125], v[148:149], -v[210:211]
	v_add_f64 v[126:127], v[126:127], v[128:129]
	v_add_f64 v[14:15], v[14:15], v[74:75]
	;; [unrolled: 1-line block ×4, first 2 shown]
	v_add_f64 v[120:121], v[174:175], -v[152:153]
	v_add_f64 v[124:125], v[124:125], v[126:127]
	v_add_f64 v[14:15], v[14:15], v[78:79]
	;; [unrolled: 1-line block ×3, first 2 shown]
	v_lshlrev_b32_e32 v8, 4, v192
	v_add_f64 v[120:121], v[120:121], v[124:125]
	ds_write_b128 v8, v[12:15]
	ds_write_b128 v8, v[120:123] offset:16
	ds_write_b128 v8, v[4:7] offset:32
	ds_write_b128 v8, v[0:3] offset:48
	ds_write_b128 v8, v[116:119] offset:64
	ds_write_b128 v8, v[112:115] offset:80
	ds_write_b128 v8, v[108:111] offset:96
	ds_write_b128 v8, v[88:91] offset:112
	ds_write_b128 v8, v[100:103] offset:128
	ds_write_b128 v8, v[104:107] offset:144
	ds_write_b128 v8, v[96:99] offset:160
	ds_write_b128 v8, v[92:95] offset:176
	ds_write_b128 v8, v[84:87] offset:192
	ds_write_b128 v8, v[80:83] offset:208
	ds_write_b128 v8, a[10:13] offset:224
	ds_write_b128 v8, a[6:9] offset:240
	ds_write_b128 v8, a[2:5] offset:256
.LBB0_7:
	s_or_b64 exec, exec, s[26:27]
	s_waitcnt lgkmcnt(0)
	s_barrier
	ds_read_b128 v[60:63], v208
	ds_read_b128 v[112:115], v208 offset:2992
	ds_read_b128 v[108:111], v208 offset:5984
	;; [unrolled: 1-line block ×6, first 2 shown]
	s_movk_i32 s0, 0x44
	v_cmp_gt_u16_e64 s[2:3], s0, v209
	s_and_saveexec_b64 s[0:1], s[2:3]
	s_cbranch_execz .LBB0_9
; %bb.8:
	ds_read_b128 v[88:91], v208 offset:1904
	ds_read_b128 v[100:103], v208 offset:4896
	;; [unrolled: 1-line block ×7, first 2 shown]
.LBB0_9:
	s_or_b64 exec, exec, s[0:1]
	s_movk_i32 s0, 0xf1
	v_mul_lo_u16_sdwa v0, v209, s0 dst_sel:DWORD dst_unused:UNUSED_PAD src0_sel:BYTE_0 src1_sel:DWORD
	v_lshrrev_b16_e32 v8, 12, v0
	v_mul_lo_u16_e32 v0, 17, v8
	v_sub_u16_e32 v0, v209, v0
	v_and_b32_e32 v9, 0xff, v0
	v_mul_u32_u24_e32 v0, 6, v9
	v_lshlrev_b32_e32 v0, 4, v0
	global_load_dwordx4 v[44:47], v0, s[6:7] offset:16
	global_load_dwordx4 v[136:139], v0, s[6:7]
	global_load_dwordx4 v[40:43], v0, s[6:7] offset:48
	global_load_dwordx4 v[132:135], v0, s[6:7] offset:32
	global_load_dwordx4 v[140:143], v0, s[6:7] offset:80
	global_load_dwordx4 v[144:147], v0, s[6:7] offset:64
	v_add_u16_e32 v0, 0x77, v209
	v_mul_lo_u16_sdwa v1, v0, s0 dst_sel:DWORD dst_unused:UNUSED_PAD src0_sel:BYTE_0 src1_sel:DWORD
	v_lshrrev_b16_e32 v1, 12, v1
	v_accvgpr_write_b32 a1, v1
	v_mul_lo_u16_e32 v1, 17, v1
	v_sub_u16_e32 v0, v0, v1
	v_and_b32_e32 v0, 0xff, v0
	v_accvgpr_write_b32 a56, v0
	v_mul_u32_u24_e32 v0, 6, v0
	v_lshlrev_b32_e32 v0, 4, v0
	global_load_dwordx4 v[200:203], v0, s[6:7]
	global_load_dwordx4 v[56:59], v0, s[6:7] offset:16
	global_load_dwordx4 v[52:55], v0, s[6:7] offset:32
	;; [unrolled: 1-line block ×5, first 2 shown]
	s_mov_b32 s20, 0xe976ee23
	s_mov_b32 s16, 0x37e14327
	s_mov_b32 s0, 0x36b3c0b5
	s_mov_b32 s21, 0xbfe11646
	s_mov_b32 s18, 0x429ad128
	s_mov_b32 s22, 0xaaaaaaaa
	s_mov_b32 s17, 0x3fe948f6
	s_mov_b32 s1, 0x3fac98ee
	s_mov_b32 s19, 0x3febfeb5
	s_mov_b32 s23, 0xbff2aaaa
	s_mov_b32 s24, 0x5476071b
	s_mov_b32 s28, 0xb247c609
	s_mov_b32 s25, 0x3fe77f67
	s_mov_b32 s27, 0xbfe77f67
	s_mov_b32 s26, s24
	s_mov_b32 s29, 0x3fd5d0dc
	s_mov_b32 s35, 0xbfd5d0dc
	s_mov_b32 s34, s28
	s_mov_b32 s30, 0x37c3f68c
	s_mov_b32 s31, 0x3fdc38aa
	s_load_dwordx4 s[8:11], s[8:9], 0x0
	v_mul_u32_u24_e32 v8, 0x77, v8
	v_add_lshl_u32 v193, v8, v9, 4
	s_waitcnt lgkmcnt(0)
	s_barrier
	s_waitcnt vmcnt(11)
	v_mul_f64 v[4:5], v[110:111], v[46:47]
	s_waitcnt vmcnt(10)
	v_mul_f64 v[0:1], v[114:115], v[138:139]
	v_mul_f64 v[2:3], v[112:113], v[138:139]
	;; [unrolled: 1-line block ×3, first 2 shown]
	s_waitcnt vmcnt(7)
	v_mul_f64 v[24:25], v[66:67], v[142:143]
	s_waitcnt vmcnt(6)
	v_mul_f64 v[20:21], v[70:71], v[146:147]
	v_mul_f64 v[12:13], v[78:79], v[134:135]
	v_mul_f64 v[16:17], v[74:75], v[42:43]
	v_mul_f64 v[22:23], v[68:69], v[146:147]
	v_mul_f64 v[26:27], v[64:65], v[142:143]
	v_fma_f64 v[0:1], v[112:113], v[136:137], -v[0:1]
	s_waitcnt vmcnt(5)
	v_mul_f64 v[28:29], v[102:103], v[202:203]
	v_fma_f64 v[4:5], v[108:109], v[44:45], -v[4:5]
	v_fma_f64 v[20:21], v[68:69], v[144:145], -v[20:21]
	;; [unrolled: 1-line block ×3, first 2 shown]
	v_mul_f64 v[14:15], v[76:77], v[134:135]
	v_mul_f64 v[18:19], v[72:73], v[42:43]
	;; [unrolled: 1-line block ×3, first 2 shown]
	s_waitcnt vmcnt(4)
	v_mul_f64 v[30:31], v[106:107], v[58:59]
	v_fmac_f64_e32 v[2:3], v[114:115], v[136:137]
	v_fmac_f64_e32 v[6:7], v[110:111], v[44:45]
	v_fma_f64 v[12:13], v[76:77], v[132:133], -v[12:13]
	v_fma_f64 v[16:17], v[72:73], v[40:41], -v[16:17]
	v_fmac_f64_e32 v[22:23], v[70:71], v[144:145]
	v_fmac_f64_e32 v[26:27], v[66:67], v[140:141]
	v_fma_f64 v[100:101], v[100:101], v[200:201], -v[28:29]
	v_add_f64 v[28:29], v[0:1], v[24:25]
	v_add_f64 v[0:1], v[0:1], -v[24:25]
	v_add_f64 v[24:25], v[4:5], v[20:21]
	s_waitcnt vmcnt(3)
	v_mul_f64 v[32:33], v[98:99], v[54:55]
	v_fmac_f64_e32 v[14:15], v[78:79], v[132:133]
	v_fmac_f64_e32 v[18:19], v[74:75], v[40:41]
	;; [unrolled: 1-line block ×3, first 2 shown]
	v_fma_f64 v[102:103], v[104:105], v[56:57], -v[30:31]
	v_add_f64 v[30:31], v[2:3], v[26:27]
	v_add_f64 v[2:3], v[2:3], -v[26:27]
	v_add_f64 v[26:27], v[6:7], v[22:23]
	v_add_f64 v[4:5], v[4:5], -v[20:21]
	;; [unrolled: 2-line block ×3, first 2 shown]
	v_add_f64 v[16:17], v[24:25], v[28:29]
	v_mul_f64 v[120:121], v[96:97], v[54:55]
	s_waitcnt vmcnt(2)
	v_mul_f64 v[34:35], v[94:95], v[50:51]
	v_fma_f64 v[96:97], v[96:97], v[52:53], -v[32:33]
	v_add_f64 v[6:7], v[6:7], -v[22:23]
	v_add_f64 v[22:23], v[14:15], v[18:19]
	v_add_f64 v[14:15], v[18:19], -v[14:15]
	v_add_f64 v[18:19], v[26:27], v[30:31]
	v_add_f64 v[32:33], v[24:25], -v[28:29]
	v_add_f64 v[64:65], v[28:29], -v[20:21]
	v_add_f64 v[28:29], v[12:13], v[4:5]
	v_add_f64 v[16:17], v[20:21], v[16:17]
	v_mul_f64 v[122:123], v[92:93], v[50:51]
	s_waitcnt vmcnt(0)
	v_mul_f64 v[130:131], v[80:81], v[38:39]
	v_fma_f64 v[92:93], v[92:93], v[48:49], -v[34:35]
	v_add_f64 v[34:35], v[26:27], -v[30:31]
	v_add_f64 v[66:67], v[30:31], -v[22:23]
	v_add_f64 v[30:31], v[14:15], v[6:7]
	v_add_f64 v[68:69], v[12:13], -v[4:5]
	v_add_f64 v[12:13], v[0:1], -v[12:13]
	;; [unrolled: 1-line block ×3, first 2 shown]
	v_add_f64 v[18:19], v[22:23], v[18:19]
	v_add_f64 v[0:1], v[28:29], v[0:1]
	;; [unrolled: 1-line block ×3, first 2 shown]
	v_mul_f64 v[126:127], v[84:85], v[206:207]
	v_mul_f64 v[128:129], v[82:83], v[38:39]
	v_fmac_f64_e32 v[130:131], v[82:83], v[36:37]
	v_add_f64 v[24:25], v[20:21], -v[24:25]
	v_add_f64 v[26:27], v[22:23], -v[26:27]
	;; [unrolled: 1-line block ×5, first 2 shown]
	v_add_f64 v[2:3], v[30:31], v[2:3]
	v_add_f64 v[30:31], v[62:63], v[18:19]
	v_mul_f64 v[82:83], v[68:69], s[20:21]
	v_mov_b64_e32 v[68:69], v[28:29]
	v_mul_f64 v[124:125], v[86:87], v[206:207]
	v_fmac_f64_e32 v[126:127], v[86:87], v[204:205]
	v_fma_f64 v[86:87], v[80:81], v[36:37], -v[128:129]
	v_mul_f64 v[20:21], v[64:65], s[16:17]
	v_mul_f64 v[22:23], v[66:67], s[16:17]
	;; [unrolled: 1-line block ×7, first 2 shown]
	v_fmac_f64_e32 v[68:69], s[22:23], v[16:17]
	v_mov_b64_e32 v[16:17], v[30:31]
	v_mul_f64 v[118:119], v[104:105], v[58:59]
	v_fmac_f64_e32 v[16:17], s[22:23], v[18:19]
	v_fma_f64 v[18:19], v[32:33], s[24:25], -v[60:61]
	v_fma_f64 v[60:61], v[34:35], s[24:25], -v[62:63]
	;; [unrolled: 1-line block ×3, first 2 shown]
	v_fmac_f64_e32 v[20:21], s[0:1], v[24:25]
	v_fma_f64 v[24:25], v[34:35], s[26:27], -v[22:23]
	v_fmac_f64_e32 v[22:23], s[0:1], v[26:27]
	v_fma_f64 v[4:5], v[4:5], s[18:19], -v[82:83]
	;; [unrolled: 2-line block ×4, first 2 shown]
	v_fma_f64 v[14:15], v[14:15], s[34:35], -v[66:67]
	v_fmac_f64_e32 v[118:119], v[106:107], v[56:57]
	v_fma_f64 v[84:85], v[84:85], v[204:205], -v[124:125]
	v_add_f64 v[22:23], v[22:23], v[16:17]
	v_add_f64 v[26:27], v[60:61], v[16:17]
	;; [unrolled: 1-line block ×4, first 2 shown]
	v_fmac_f64_e32 v[12:13], s[30:31], v[0:1]
	v_fmac_f64_e32 v[14:15], s[30:31], v[2:3]
	;; [unrolled: 1-line block ×4, first 2 shown]
	v_add_f64 v[20:21], v[20:21], v[68:69]
	v_add_f64 v[18:19], v[18:19], v[68:69]
	v_fmac_f64_e32 v[82:83], s[30:31], v[0:1]
	v_fmac_f64_e32 v[80:81], s[30:31], v[2:3]
	;; [unrolled: 1-line block ×4, first 2 shown]
	v_add_f64 v[64:65], v[14:15], v[60:61]
	v_add_f64 v[66:67], v[16:17], -v[12:13]
	v_add_f64 v[76:77], v[60:61], -v[14:15]
	v_add_f64 v[78:79], v[12:13], v[16:17]
	v_add_f64 v[0:1], v[100:101], v[86:87]
	;; [unrolled: 1-line block ×6, first 2 shown]
	v_add_f64 v[34:35], v[22:23], -v[82:83]
	v_add_f64 v[68:69], v[18:19], -v[6:7]
	v_add_f64 v[70:71], v[4:5], v[26:27]
	v_add_f64 v[72:73], v[6:7], v[18:19]
	v_add_f64 v[74:75], v[26:27], -v[4:5]
	v_add_f64 v[80:81], v[20:21], -v[80:81]
	v_add_f64 v[82:83], v[82:83], v[22:23]
	v_add_f64 v[4:5], v[100:101], -v[86:87]
	v_add_f64 v[6:7], v[116:117], -v[130:131]
	v_add_f64 v[16:17], v[102:103], -v[84:85]
	v_add_f64 v[18:19], v[118:119], -v[126:127]
	v_add_f64 v[20:21], v[96:97], v[92:93]
	v_add_f64 v[22:23], v[120:121], v[122:123]
	v_add_f64 v[24:25], v[92:93], -v[96:97]
	v_add_f64 v[26:27], v[122:123], -v[120:121]
	v_add_f64 v[60:61], v[12:13], v[0:1]
	v_add_f64 v[62:63], v[14:15], v[2:3]
	v_add_f64 v[84:85], v[12:13], -v[0:1]
	v_add_f64 v[86:87], v[14:15], -v[2:3]
	;; [unrolled: 1-line block ×6, first 2 shown]
	v_add_f64 v[92:93], v[24:25], v[16:17]
	v_add_f64 v[94:95], v[26:27], v[18:19]
	v_add_f64 v[96:97], v[24:25], -v[16:17]
	v_add_f64 v[98:99], v[26:27], -v[18:19]
	;; [unrolled: 1-line block ×4, first 2 shown]
	v_add_f64 v[18:19], v[20:21], v[60:61]
	v_add_f64 v[20:21], v[22:23], v[62:63]
	v_add_f64 v[24:25], v[4:5], -v[24:25]
	v_add_f64 v[26:27], v[6:7], -v[26:27]
	v_add_f64 v[92:93], v[92:93], v[4:5]
	v_add_f64 v[94:95], v[94:95], v[6:7]
	;; [unrolled: 1-line block ×4, first 2 shown]
	v_mul_f64 v[4:5], v[0:1], s[16:17]
	v_mul_f64 v[6:7], v[2:3], s[16:17]
	v_mul_f64 v[2:3], v[12:13], s[0:1]
	v_mul_f64 v[22:23], v[14:15], s[0:1]
	v_mul_f64 v[88:89], v[96:97], s[20:21]
	v_mul_f64 v[0:1], v[98:99], s[20:21]
	v_mul_f64 v[90:91], v[16:17], s[18:19]
	v_mul_f64 v[96:97], v[100:101], s[18:19]
	v_fma_f64 v[98:99], s[22:23], v[18:19], v[60:61]
	v_fma_f64 v[102:103], s[22:23], v[20:21], v[62:63]
	;; [unrolled: 1-line block ×3, first 2 shown]
	v_fma_f64 v[104:105], v[84:85], s[24:25], -v[2:3]
	v_fma_f64 v[106:107], v[86:87], s[24:25], -v[22:23]
	v_fma_f64 v[84:85], v[84:85], s[26:27], -v[4:5]
	v_fma_f64 v[86:87], v[86:87], s[26:27], -v[6:7]
	v_fmac_f64_e32 v[6:7], s[0:1], v[14:15]
	v_fma_f64 v[2:3], s[28:29], v[24:25], v[88:89]
	v_fma_f64 v[18:19], v[16:17], s[18:19], -v[88:89]
	v_fma_f64 v[14:15], v[100:101], s[18:19], -v[0:1]
	v_fmac_f64_e32 v[0:1], s[28:29], v[26:27]
	v_fma_f64 v[16:17], v[24:25], s[34:35], -v[90:91]
	v_fma_f64 v[12:13], v[26:27], s[34:35], -v[96:97]
	v_accvgpr_write_b32 a40, v136
	v_accvgpr_write_b32 a32, v44
	;; [unrolled: 1-line block ×9, first 2 shown]
	v_add_f64 v[4:5], v[20:21], v[98:99]
	v_add_f64 v[6:7], v[6:7], v[102:103]
	;; [unrolled: 1-line block ×6, first 2 shown]
	v_fmac_f64_e32 v[2:3], s[30:31], v[92:93]
	v_fmac_f64_e32 v[0:1], s[30:31], v[94:95]
	;; [unrolled: 1-line block ×6, first 2 shown]
	v_accvgpr_write_b32 a41, v137
	v_accvgpr_write_b32 a42, v138
	;; [unrolled: 1-line block ×27, first 2 shown]
	v_add_f64 v[100:101], v[14:15], v[22:23]
	v_add_f64 v[102:103], v[26:27], -v[18:19]
	v_add_f64 v[104:105], v[20:21], -v[12:13]
	v_add_f64 v[106:107], v[16:17], v[24:25]
	v_add_f64 v[108:109], v[4:5], -v[0:1]
	v_add_f64 v[110:111], v[2:3], v[6:7]
	ds_write_b128 v193, v[28:31]
	ds_write_b128 v193, v[32:35] offset:272
	ds_write_b128 v193, v[64:67] offset:544
	;; [unrolled: 1-line block ×6, first 2 shown]
	s_mov_b64 s[0:1], exec
	v_accvgpr_read_b32 v39, a5
	v_accvgpr_read_b32 v43, a9
	;; [unrolled: 1-line block ×3, first 2 shown]
	s_and_b64 s[16:17], s[0:1], s[2:3]
	v_accvgpr_read_b32 v38, a4
	v_accvgpr_read_b32 v37, a3
	;; [unrolled: 1-line block ×9, first 2 shown]
	s_mov_b64 exec, s[16:17]
	s_cbranch_execz .LBB0_11
; %bb.10:
	v_add_f64 v[0:1], v[0:1], v[4:5]
	v_accvgpr_read_b32 v4, a1
	v_mul_u32_u24_e32 v4, 0x77, v4
	v_accvgpr_read_b32 v5, a56
	v_add_lshl_u32 v4, v4, v5, 4
	v_add_f64 v[28:29], v[18:19], v[26:27]
	v_add_f64 v[26:27], v[22:23], -v[14:15]
	v_add_f64 v[14:15], v[24:25], -v[16:17]
	v_add_f64 v[12:13], v[12:13], v[20:21]
	v_add_f64 v[2:3], v[6:7], -v[2:3]
	ds_write_b128 v4, v[60:63]
	ds_write_b128 v4, v[0:3] offset:272
	ds_write_b128 v4, v[12:15] offset:544
	;; [unrolled: 1-line block ×6, first 2 shown]
.LBB0_11:
	s_or_b64 exec, exec, s[0:1]
	s_movk_i32 s0, 0xa0
	v_mov_b64_e32 v[0:1], s[6:7]
	v_mad_u64_u32 v[0:1], s[0:1], v209, s0, v[0:1]
	s_waitcnt lgkmcnt(0)
	s_barrier
	global_load_dwordx4 v[72:75], v[0:1], off offset:1632
	global_load_dwordx4 v[68:71], v[0:1], off offset:1648
	;; [unrolled: 1-line block ×10, first 2 shown]
	ds_read_b128 v[20:23], v208
	ds_read_b128 v[4:7], v208 offset:1904
	ds_read_b128 v[16:19], v208 offset:3808
	;; [unrolled: 1-line block ×10, first 2 shown]
	s_mov_b32 s20, 0xf8bb580b
	s_mov_b32 s18, 0x43842ef
	;; [unrolled: 1-line block ×26, first 2 shown]
	s_waitcnt vmcnt(9) lgkmcnt(9)
	v_mul_f64 v[132:133], v[6:7], v[74:75]
	v_mul_f64 v[134:135], v[4:5], v[74:75]
	s_waitcnt vmcnt(8) lgkmcnt(8)
	v_mul_f64 v[136:137], v[18:19], v[70:71]
	v_mul_f64 v[138:139], v[16:17], v[70:71]
	;; [unrolled: 3-line block ×3, first 2 shown]
	v_fma_f64 v[132:133], v[4:5], v[72:73], -v[132:133]
	v_fmac_f64_e32 v[134:135], v[6:7], v[72:73]
	v_mul_f64 v[140:141], v[26:27], v[66:67]
	v_mul_f64 v[142:143], v[24:25], v[66:67]
	v_fma_f64 v[136:137], v[16:17], v[68:69], -v[136:137]
	v_fmac_f64_e32 v[138:139], v[18:19], v[68:69]
	v_fma_f64 v[4:5], v[32:33], v[88:89], -v[146:147]
	v_fmac_f64_e32 v[0:1], v[34:35], v[88:89]
	v_add_f64 v[32:33], v[20:21], v[132:133]
	v_add_f64 v[34:35], v[22:23], v[134:135]
	v_mul_f64 v[144:145], v[30:31], v[62:63]
	v_mul_f64 v[12:13], v[28:29], v[62:63]
	v_fma_f64 v[24:25], v[24:25], v[64:65], -v[140:141]
	v_fmac_f64_e32 v[142:143], v[26:27], v[64:65]
	v_add_f64 v[32:33], v[32:33], v[136:137]
	v_add_f64 v[34:35], v[34:35], v[138:139]
	v_fma_f64 v[16:17], v[28:29], v[60:61], -v[144:145]
	v_fmac_f64_e32 v[12:13], v[30:31], v[60:61]
	v_add_f64 v[32:33], v[32:33], v[24:25]
	v_add_f64 v[34:35], v[34:35], v[142:143]
	s_waitcnt vmcnt(4) lgkmcnt(4)
	v_mul_f64 v[148:149], v[114:115], v[86:87]
	v_mul_f64 v[2:3], v[112:113], v[86:87]
	v_add_f64 v[32:33], v[32:33], v[16:17]
	v_add_f64 v[34:35], v[34:35], v[12:13]
	s_waitcnt vmcnt(3) lgkmcnt(3)
	v_mul_f64 v[150:151], v[118:119], v[82:83]
	v_mul_f64 v[14:15], v[116:117], v[82:83]
	v_fma_f64 v[6:7], v[112:113], v[84:85], -v[148:149]
	v_fmac_f64_e32 v[2:3], v[114:115], v[84:85]
	v_add_f64 v[32:33], v[32:33], v[4:5]
	v_add_f64 v[34:35], v[34:35], v[0:1]
	s_waitcnt vmcnt(2) lgkmcnt(2)
	v_mul_f64 v[152:153], v[122:123], v[78:79]
	v_mul_f64 v[154:155], v[120:121], v[78:79]
	v_fma_f64 v[18:19], v[116:117], v[80:81], -v[150:151]
	v_fmac_f64_e32 v[14:15], v[118:119], v[80:81]
	v_add_f64 v[32:33], v[32:33], v[6:7]
	v_add_f64 v[34:35], v[34:35], v[2:3]
	s_waitcnt vmcnt(1) lgkmcnt(1)
	v_mul_f64 v[156:157], v[126:127], v[98:99]
	v_mul_f64 v[158:159], v[124:125], v[98:99]
	s_waitcnt vmcnt(0) lgkmcnt(0)
	v_mul_f64 v[160:161], v[130:131], v[94:95]
	v_mul_f64 v[162:163], v[128:129], v[94:95]
	v_fma_f64 v[26:27], v[120:121], v[76:77], -v[152:153]
	v_fmac_f64_e32 v[154:155], v[122:123], v[76:77]
	v_add_f64 v[32:33], v[32:33], v[18:19]
	v_add_f64 v[34:35], v[34:35], v[14:15]
	v_fma_f64 v[28:29], v[124:125], v[96:97], -v[156:157]
	v_fmac_f64_e32 v[158:159], v[126:127], v[96:97]
	v_fma_f64 v[30:31], v[128:129], v[92:93], -v[160:161]
	v_fmac_f64_e32 v[162:163], v[130:131], v[92:93]
	v_add_f64 v[32:33], v[32:33], v[26:27]
	v_add_f64 v[34:35], v[34:35], v[154:155]
	v_add_f64 v[120:121], v[132:133], -v[30:31]
	v_add_f64 v[122:123], v[134:135], -v[162:163]
	v_add_f64 v[32:33], v[32:33], v[28:29]
	v_add_f64 v[34:35], v[34:35], v[158:159]
	;; [unrolled: 1-line block ×6, first 2 shown]
	v_mul_f64 v[30:31], v[122:123], s[20:21]
	v_mul_f64 v[34:35], v[120:121], s[20:21]
	;; [unrolled: 1-line block ×10, first 2 shown]
	v_fma_f64 v[32:33], v[116:117], s[22:23], -v[30:31]
	v_fma_f64 v[124:125], s[22:23], v[118:119], v[34:35]
	v_fmac_f64_e32 v[30:31], s[22:23], v[116:117]
	v_fma_f64 v[34:35], v[118:119], s[22:23], -v[34:35]
	v_fma_f64 v[128:129], v[116:117], s[0:1], -v[126:127]
	v_fma_f64 v[132:133], s[0:1], v[118:119], v[130:131]
	v_fmac_f64_e32 v[126:127], s[0:1], v[116:117]
	v_fma_f64 v[130:131], v[118:119], s[0:1], -v[130:131]
	v_fma_f64 v[140:141], v[116:117], s[6:7], -v[134:135]
	v_fma_f64 v[146:147], s[6:7], v[118:119], v[144:145]
	v_fmac_f64_e32 v[134:135], s[6:7], v[116:117]
	v_fma_f64 v[144:145], v[118:119], s[6:7], -v[144:145]
	v_fma_f64 v[150:151], v[116:117], s[24:25], -v[148:149]
	v_fma_f64 v[156:157], s[24:25], v[118:119], v[152:153]
	v_fmac_f64_e32 v[148:149], s[24:25], v[116:117]
	v_fma_f64 v[152:153], v[118:119], s[24:25], -v[152:153]
	v_fma_f64 v[160:161], v[116:117], s[28:29], -v[122:123]
	v_fma_f64 v[162:163], s[28:29], v[118:119], v[120:121]
	v_fmac_f64_e32 v[122:123], s[28:29], v[116:117]
	v_fma_f64 v[116:117], v[118:119], s[28:29], -v[120:121]
	v_add_f64 v[120:121], v[138:139], -v[158:159]
	v_add_f64 v[32:33], v[20:21], v[32:33]
	v_add_f64 v[124:125], v[22:23], v[124:125]
	;; [unrolled: 1-line block ×21, first 2 shown]
	v_mul_f64 v[122:123], v[120:121], s[16:17]
	v_add_f64 v[28:29], v[136:137], -v[28:29]
	v_fma_f64 v[136:137], v[116:117], s[0:1], -v[122:123]
	v_add_f64 v[118:119], v[138:139], v[158:159]
	v_add_f64 v[32:33], v[136:137], v[32:33]
	v_mul_f64 v[136:137], v[28:29], s[16:17]
	v_fmac_f64_e32 v[122:123], s[0:1], v[116:117]
	v_add_f64 v[30:31], v[122:123], v[30:31]
	v_fma_f64 v[122:123], v[118:119], s[0:1], -v[136:137]
	v_add_f64 v[34:35], v[122:123], v[34:35]
	v_mul_f64 v[122:123], v[120:121], s[26:27]
	v_fma_f64 v[138:139], s[0:1], v[118:119], v[136:137]
	v_fma_f64 v[136:137], v[116:117], s[24:25], -v[122:123]
	v_add_f64 v[128:129], v[136:137], v[128:129]
	v_mul_f64 v[136:137], v[28:29], s[26:27]
	v_fmac_f64_e32 v[122:123], s[24:25], v[116:117]
	v_add_f64 v[122:123], v[122:123], v[126:127]
	v_fma_f64 v[126:127], v[118:119], s[24:25], -v[136:137]
	v_add_f64 v[124:125], v[138:139], v[124:125]
	v_fma_f64 v[138:139], s[24:25], v[118:119], v[136:137]
	v_add_f64 v[126:127], v[126:127], v[130:131]
	v_mul_f64 v[130:131], v[120:121], s[38:39]
	v_add_f64 v[132:133], v[138:139], v[132:133]
	v_fma_f64 v[136:137], v[116:117], s[28:29], -v[130:131]
	v_mul_f64 v[138:139], v[28:29], s[38:39]
	v_fmac_f64_e32 v[130:131], s[28:29], v[116:117]
	v_add_f64 v[136:137], v[136:137], v[140:141]
	v_fma_f64 v[140:141], s[28:29], v[118:119], v[138:139]
	v_add_f64 v[130:131], v[130:131], v[134:135]
	v_fma_f64 v[134:135], v[118:119], s[28:29], -v[138:139]
	v_mul_f64 v[138:139], v[120:121], s[36:37]
	v_add_f64 v[140:141], v[140:141], v[146:147]
	v_add_f64 v[134:135], v[134:135], v[144:145]
	v_fma_f64 v[144:145], v[116:117], s[6:7], -v[138:139]
	v_mul_f64 v[146:147], v[28:29], s[36:37]
	v_add_f64 v[144:145], v[144:145], v[150:151]
	v_fma_f64 v[150:151], s[6:7], v[118:119], v[146:147]
	v_fma_f64 v[146:147], v[118:119], s[6:7], -v[146:147]
	v_mul_f64 v[28:29], v[28:29], s[34:35]
	v_add_f64 v[146:147], v[146:147], v[152:153]
	v_fma_f64 v[152:153], s[22:23], v[118:119], v[28:29]
	v_fma_f64 v[28:29], v[118:119], s[22:23], -v[28:29]
	v_fmac_f64_e32 v[138:139], s[6:7], v[116:117]
	v_mul_f64 v[120:121], v[120:121], s[34:35]
	v_add_f64 v[22:23], v[28:29], v[22:23]
	v_add_f64 v[28:29], v[24:25], v[26:27]
	v_add_f64 v[24:25], v[24:25], -v[26:27]
	v_add_f64 v[26:27], v[142:143], -v[154:155]
	v_add_f64 v[138:139], v[138:139], v[148:149]
	v_fma_f64 v[148:149], v[116:117], s[22:23], -v[120:121]
	v_fmac_f64_e32 v[120:121], s[22:23], v[116:117]
	v_mul_f64 v[118:119], v[26:27], s[18:19]
	v_add_f64 v[20:21], v[120:121], v[20:21]
	v_fma_f64 v[120:121], v[28:29], s[6:7], -v[118:119]
	v_add_f64 v[116:117], v[142:143], v[154:155]
	v_add_f64 v[32:33], v[120:121], v[32:33]
	v_mul_f64 v[120:121], v[24:25], s[18:19]
	v_fmac_f64_e32 v[118:119], s[6:7], v[28:29]
	v_add_f64 v[30:31], v[118:119], v[30:31]
	v_fma_f64 v[118:119], v[116:117], s[6:7], -v[120:121]
	v_add_f64 v[34:35], v[118:119], v[34:35]
	v_mul_f64 v[118:119], v[26:27], s[38:39]
	v_fma_f64 v[142:143], s[6:7], v[116:117], v[120:121]
	v_fma_f64 v[120:121], v[28:29], s[28:29], -v[118:119]
	v_add_f64 v[120:121], v[120:121], v[128:129]
	v_mul_f64 v[128:129], v[24:25], s[38:39]
	v_fmac_f64_e32 v[118:119], s[28:29], v[28:29]
	v_add_f64 v[118:119], v[118:119], v[122:123]
	v_fma_f64 v[122:123], v[116:117], s[28:29], -v[128:129]
	s_mov_b32 s17, 0x3fed1bb4
	v_add_f64 v[122:123], v[122:123], v[126:127]
	v_mul_f64 v[126:127], v[26:27], s[16:17]
	v_add_f64 v[124:125], v[142:143], v[124:125]
	v_fma_f64 v[142:143], s[28:29], v[116:117], v[128:129]
	v_fma_f64 v[128:129], v[28:29], s[0:1], -v[126:127]
	v_add_f64 v[128:129], v[128:129], v[136:137]
	v_mul_f64 v[136:137], v[24:25], s[16:17]
	v_fmac_f64_e32 v[126:127], s[0:1], v[28:29]
	v_add_f64 v[126:127], v[126:127], v[130:131]
	v_fma_f64 v[130:131], v[116:117], s[0:1], -v[136:137]
	v_add_f64 v[132:133], v[142:143], v[132:133]
	v_fma_f64 v[142:143], s[0:1], v[116:117], v[136:137]
	v_add_f64 v[130:131], v[130:131], v[134:135]
	v_mul_f64 v[134:135], v[26:27], s[20:21]
	v_add_f64 v[140:141], v[142:143], v[140:141]
	v_fma_f64 v[136:137], v[28:29], s[22:23], -v[134:135]
	v_mul_f64 v[142:143], v[24:25], s[20:21]
	v_fmac_f64_e32 v[134:135], s[22:23], v[28:29]
	v_mul_f64 v[26:27], v[26:27], s[26:27]
	v_add_f64 v[136:137], v[136:137], v[144:145]
	v_fma_f64 v[144:145], s[22:23], v[116:117], v[142:143]
	v_add_f64 v[134:135], v[134:135], v[138:139]
	v_fma_f64 v[138:139], v[116:117], s[22:23], -v[142:143]
	v_fma_f64 v[142:143], v[28:29], s[24:25], -v[26:27]
	v_mul_f64 v[24:25], v[24:25], s[26:27]
	v_fmac_f64_e32 v[26:27], s[24:25], v[28:29]
	v_add_f64 v[138:139], v[138:139], v[146:147]
	v_fma_f64 v[146:147], s[24:25], v[116:117], v[24:25]
	v_add_f64 v[20:21], v[26:27], v[20:21]
	v_fma_f64 v[24:25], v[116:117], s[24:25], -v[24:25]
	v_add_f64 v[26:27], v[12:13], v[14:15]
	v_add_f64 v[12:13], v[12:13], -v[14:15]
	v_add_f64 v[22:23], v[24:25], v[22:23]
	v_add_f64 v[24:25], v[16:17], v[18:19]
	v_add_f64 v[16:17], v[16:17], -v[18:19]
	v_mul_f64 v[14:15], v[12:13], s[26:27]
	v_fma_f64 v[18:19], v[24:25], s[24:25], -v[14:15]
	v_mul_f64 v[28:29], v[16:17], s[26:27]
	v_fmac_f64_e32 v[14:15], s[24:25], v[24:25]
	v_add_f64 v[18:19], v[18:19], v[32:33]
	v_fma_f64 v[32:33], s[24:25], v[26:27], v[28:29]
	v_add_f64 v[14:15], v[14:15], v[30:31]
	v_fma_f64 v[28:29], v[26:27], s[24:25], -v[28:29]
	v_mul_f64 v[30:31], v[12:13], s[36:37]
	v_add_f64 v[28:29], v[28:29], v[34:35]
	v_fma_f64 v[34:35], v[24:25], s[6:7], -v[30:31]
	v_mul_f64 v[116:117], v[16:17], s[36:37]
	v_add_f64 v[148:149], v[148:149], v[160:161]
	v_add_f64 v[34:35], v[34:35], v[120:121]
	v_fma_f64 v[120:121], s[6:7], v[26:27], v[116:117]
	v_fma_f64 v[116:117], v[26:27], s[6:7], -v[116:117]
	v_add_f64 v[142:143], v[142:143], v[148:149]
	v_fmac_f64_e32 v[30:31], s[6:7], v[24:25]
	v_add_f64 v[148:149], v[116:117], v[122:123]
	v_mul_f64 v[116:117], v[12:13], s[20:21]
	v_add_f64 v[30:31], v[30:31], v[118:119]
	v_fma_f64 v[118:119], v[24:25], s[22:23], -v[116:117]
	v_add_f64 v[150:151], v[150:151], v[156:157]
	v_add_f64 v[128:129], v[118:119], v[128:129]
	v_mul_f64 v[118:119], v[16:17], s[20:21]
	v_fmac_f64_e32 v[116:117], s[22:23], v[24:25]
	v_add_f64 v[144:145], v[144:145], v[150:151]
	v_add_f64 v[150:151], v[116:117], v[126:127]
	v_fma_f64 v[116:117], v[26:27], s[22:23], -v[118:119]
	v_add_f64 v[130:131], v[116:117], v[130:131]
	v_mul_f64 v[116:117], v[12:13], s[30:31]
	v_add_f64 v[152:153], v[152:153], v[162:163]
	v_add_f64 v[32:33], v[32:33], v[124:125]
	v_add_f64 v[124:125], v[120:121], v[132:133]
	v_fma_f64 v[120:121], s[22:23], v[26:27], v[118:119]
	v_fma_f64 v[118:119], v[24:25], s[28:29], -v[116:117]
	v_add_f64 v[146:147], v[146:147], v[152:153]
	v_add_f64 v[152:153], v[118:119], v[136:137]
	v_mul_f64 v[118:119], v[16:17], s[30:31]
	v_fmac_f64_e32 v[116:117], s[28:29], v[24:25]
	v_add_f64 v[156:157], v[116:117], v[134:135]
	v_fma_f64 v[116:117], v[26:27], s[28:29], -v[118:119]
	v_mul_f64 v[12:13], v[12:13], s[16:17]
	v_add_f64 v[158:159], v[116:117], v[138:139]
	v_fma_f64 v[116:117], v[24:25], s[0:1], -v[12:13]
	v_mul_f64 v[16:17], v[16:17], s[16:17]
	v_add_f64 v[142:143], v[116:117], v[142:143]
	v_fma_f64 v[116:117], s[0:1], v[26:27], v[16:17]
	v_fma_f64 v[16:17], v[26:27], s[0:1], -v[16:17]
	v_fmac_f64_e32 v[12:13], s[0:1], v[24:25]
	v_add_f64 v[16:17], v[16:17], v[22:23]
	v_add_f64 v[22:23], v[0:1], v[2:3]
	v_add_f64 v[0:1], v[0:1], -v[2:3]
	v_add_f64 v[12:13], v[12:13], v[20:21]
	v_add_f64 v[20:21], v[4:5], v[6:7]
	v_mul_f64 v[2:3], v[0:1], s[30:31]
	v_add_f64 v[4:5], v[4:5], -v[6:7]
	v_fma_f64 v[6:7], v[20:21], s[28:29], -v[2:3]
	v_add_f64 v[160:161], v[116:117], v[146:147]
	v_add_f64 v[116:117], v[6:7], v[18:19]
	v_mul_f64 v[6:7], v[4:5], s[30:31]
	v_fmac_f64_e32 v[2:3], s[28:29], v[20:21]
	v_add_f64 v[132:133], v[2:3], v[14:15]
	v_fma_f64 v[2:3], v[22:23], s[28:29], -v[6:7]
	v_add_f64 v[134:135], v[2:3], v[28:29]
	v_mul_f64 v[2:3], v[0:1], s[34:35]
	v_add_f64 v[140:141], v[120:121], v[140:141]
	v_fma_f64 v[120:121], s[28:29], v[26:27], v[118:119]
	v_fma_f64 v[18:19], s[28:29], v[22:23], v[6:7]
	v_fma_f64 v[6:7], v[20:21], s[22:23], -v[2:3]
	v_add_f64 v[154:155], v[120:121], v[144:145]
	v_add_f64 v[120:121], v[6:7], v[34:35]
	v_mul_f64 v[6:7], v[4:5], s[34:35]
	v_fmac_f64_e32 v[2:3], s[22:23], v[20:21]
	v_add_f64 v[136:137], v[2:3], v[30:31]
	v_fma_f64 v[2:3], v[22:23], s[22:23], -v[6:7]
	v_add_f64 v[138:139], v[2:3], v[148:149]
	v_mul_f64 v[2:3], v[0:1], s[26:27]
	v_fma_f64 v[14:15], s[22:23], v[22:23], v[6:7]
	v_fma_f64 v[6:7], v[20:21], s[24:25], -v[2:3]
	v_add_f64 v[122:123], v[14:15], v[124:125]
	v_add_f64 v[124:125], v[6:7], v[128:129]
	v_mul_f64 v[6:7], v[4:5], s[26:27]
	v_fmac_f64_e32 v[2:3], s[24:25], v[20:21]
	v_add_f64 v[144:145], v[2:3], v[150:151]
	v_fma_f64 v[2:3], v[22:23], s[24:25], -v[6:7]
	v_add_f64 v[146:147], v[2:3], v[130:131]
	v_mul_f64 v[2:3], v[0:1], s[16:17]
	v_fma_f64 v[14:15], s[24:25], v[22:23], v[6:7]
	v_fma_f64 v[6:7], v[20:21], s[0:1], -v[2:3]
	v_add_f64 v[128:129], v[6:7], v[152:153]
	v_mul_f64 v[6:7], v[4:5], s[16:17]
	v_fmac_f64_e32 v[2:3], s[0:1], v[20:21]
	v_add_f64 v[148:149], v[2:3], v[156:157]
	v_fma_f64 v[2:3], v[22:23], s[0:1], -v[6:7]
	v_mul_f64 v[0:1], v[0:1], s[18:19]
	v_add_f64 v[150:151], v[2:3], v[158:159]
	v_fma_f64 v[2:3], v[20:21], s[6:7], -v[0:1]
	v_add_f64 v[126:127], v[14:15], v[140:141]
	v_add_f64 v[140:141], v[2:3], v[142:143]
	v_mul_f64 v[2:3], v[4:5], s[18:19]
	v_fmac_f64_e32 v[0:1], s[6:7], v[20:21]
	v_fma_f64 v[14:15], s[0:1], v[22:23], v[6:7]
	v_fma_f64 v[4:5], s[6:7], v[22:23], v[2:3]
	v_add_f64 v[152:153], v[0:1], v[12:13]
	v_fma_f64 v[0:1], v[22:23], s[6:7], -v[2:3]
	v_add_f64 v[118:119], v[18:19], v[32:33]
	v_add_f64 v[130:131], v[14:15], v[154:155]
	;; [unrolled: 1-line block ×4, first 2 shown]
	ds_write_b128 v208, v[112:115]
	ds_write_b128 v208, v[116:119] offset:1904
	ds_write_b128 v208, v[120:123] offset:3808
	;; [unrolled: 1-line block ×10, first 2 shown]
	s_waitcnt lgkmcnt(0)
	s_barrier
	s_and_saveexec_b64 s[0:1], s[4:5]
	s_cbranch_execz .LBB0_13
; %bb.12:
	v_mov_b32_e32 v0, v209
	v_mov_b32_e32 v209, 0
	v_lshl_add_u64 v[12:13], s[12:13], 0, v[208:209]
	v_add_co_u32_e32 v4, vcc, 0x5000, v12
	v_mov_b32_e32 v209, v0
	s_nop 0
	v_addc_co_u32_e32 v5, vcc, 0, v13, vcc
	global_load_dwordx4 v[4:7], v[4:5], off offset:464
	ds_read_b128 v[0:3], v208
	ds_read_b128 v[156:159], v208 offset:19712
	s_mov_b64 s[6:7], 0x51d0
	v_lshl_add_u64 v[18:19], v[12:13], 0, s[6:7]
	s_movk_i32 s6, 0x6000
	s_waitcnt vmcnt(0) lgkmcnt(1)
	v_mul_f64 v[14:15], v[2:3], v[6:7]
	v_mul_f64 v[16:17], v[0:1], v[6:7]
	v_fma_f64 v[14:15], v[0:1], v[4:5], -v[14:15]
	v_fmac_f64_e32 v[16:17], v[2:3], v[4:5]
	global_load_dwordx4 v[4:7], v[18:19], off offset:1232
	ds_read_b128 v[0:3], v208 offset:1232
	ds_write_b128 v208, v[14:17]
	s_waitcnt vmcnt(0) lgkmcnt(1)
	v_mul_f64 v[14:15], v[2:3], v[6:7]
	v_mul_f64 v[16:17], v[0:1], v[6:7]
	v_fma_f64 v[14:15], v[0:1], v[4:5], -v[14:15]
	v_fmac_f64_e32 v[16:17], v[2:3], v[4:5]
	global_load_dwordx4 v[4:7], v[18:19], off offset:2464
	ds_read_b128 v[0:3], v208 offset:2464
	ds_write_b128 v208, v[14:17] offset:1232
	s_waitcnt vmcnt(0) lgkmcnt(1)
	v_mul_f64 v[14:15], v[2:3], v[6:7]
	v_mul_f64 v[16:17], v[0:1], v[6:7]
	v_fma_f64 v[14:15], v[0:1], v[4:5], -v[14:15]
	v_fmac_f64_e32 v[16:17], v[2:3], v[4:5]
	global_load_dwordx4 v[4:7], v[18:19], off offset:3696
	ds_read_b128 v[0:3], v208 offset:3696
	v_add_co_u32_e32 v18, vcc, s6, v12
	ds_write_b128 v208, v[14:17] offset:2464
	s_nop 0
	v_addc_co_u32_e32 v19, vcc, 0, v13, vcc
	s_movk_i32 s6, 0x7000
	s_waitcnt vmcnt(0) lgkmcnt(1)
	v_mul_f64 v[14:15], v[2:3], v[6:7]
	v_mul_f64 v[16:17], v[0:1], v[6:7]
	v_fma_f64 v[14:15], v[0:1], v[4:5], -v[14:15]
	v_fmac_f64_e32 v[16:17], v[2:3], v[4:5]
	global_load_dwordx4 v[4:7], v[18:19], off offset:1296
	ds_read_b128 v[0:3], v208 offset:4928
	ds_write_b128 v208, v[14:17] offset:3696
	s_waitcnt vmcnt(0) lgkmcnt(1)
	v_mul_f64 v[14:15], v[2:3], v[6:7]
	v_mul_f64 v[16:17], v[0:1], v[6:7]
	v_fma_f64 v[14:15], v[0:1], v[4:5], -v[14:15]
	v_fmac_f64_e32 v[16:17], v[2:3], v[4:5]
	global_load_dwordx4 v[4:7], v[18:19], off offset:2528
	ds_read_b128 v[0:3], v208 offset:6160
	ds_write_b128 v208, v[14:17] offset:4928
	s_waitcnt vmcnt(0) lgkmcnt(1)
	v_mul_f64 v[14:15], v[2:3], v[6:7]
	v_mul_f64 v[16:17], v[0:1], v[6:7]
	v_fma_f64 v[14:15], v[0:1], v[4:5], -v[14:15]
	v_fmac_f64_e32 v[16:17], v[2:3], v[4:5]
	global_load_dwordx4 v[4:7], v[18:19], off offset:3760
	ds_read_b128 v[0:3], v208 offset:7392
	v_add_co_u32_e32 v18, vcc, s6, v12
	ds_write_b128 v208, v[14:17] offset:6160
	s_nop 0
	v_addc_co_u32_e32 v19, vcc, 0, v13, vcc
	s_mov_b32 s6, 0x8000
	s_waitcnt vmcnt(0) lgkmcnt(1)
	v_mul_f64 v[14:15], v[2:3], v[6:7]
	v_mul_f64 v[16:17], v[0:1], v[6:7]
	v_fma_f64 v[14:15], v[0:1], v[4:5], -v[14:15]
	v_fmac_f64_e32 v[16:17], v[2:3], v[4:5]
	global_load_dwordx4 v[4:7], v[18:19], off offset:896
	ds_read_b128 v[0:3], v208 offset:8624
	ds_write_b128 v208, v[14:17] offset:7392
	s_waitcnt vmcnt(0) lgkmcnt(1)
	v_mul_f64 v[14:15], v[2:3], v[6:7]
	v_mul_f64 v[16:17], v[0:1], v[6:7]
	v_fma_f64 v[14:15], v[0:1], v[4:5], -v[14:15]
	v_fmac_f64_e32 v[16:17], v[2:3], v[4:5]
	global_load_dwordx4 v[4:7], v[18:19], off offset:2128
	ds_read_b128 v[0:3], v208 offset:9856
	ds_write_b128 v208, v[14:17] offset:8624
	s_waitcnt vmcnt(0) lgkmcnt(1)
	v_mul_f64 v[14:15], v[2:3], v[6:7]
	v_mul_f64 v[16:17], v[0:1], v[6:7]
	v_fma_f64 v[14:15], v[0:1], v[4:5], -v[14:15]
	v_fmac_f64_e32 v[16:17], v[2:3], v[4:5]
	global_load_dwordx4 v[4:7], v[18:19], off offset:3360
	ds_read_b128 v[0:3], v208 offset:11088
	v_add_co_u32_e32 v18, vcc, s6, v12
	ds_write_b128 v208, v[14:17] offset:9856
	s_nop 0
	v_addc_co_u32_e32 v19, vcc, 0, v13, vcc
	s_mov_b32 s6, 0x9000
	s_waitcnt vmcnt(0) lgkmcnt(1)
	v_mul_f64 v[14:15], v[2:3], v[6:7]
	v_mul_f64 v[16:17], v[0:1], v[6:7]
	v_fma_f64 v[14:15], v[0:1], v[4:5], -v[14:15]
	v_fmac_f64_e32 v[16:17], v[2:3], v[4:5]
	global_load_dwordx4 v[4:7], v[18:19], off offset:496
	ds_read_b128 v[0:3], v208 offset:12320
	ds_write_b128 v208, v[14:17] offset:11088
	s_waitcnt vmcnt(0) lgkmcnt(1)
	v_mul_f64 v[14:15], v[2:3], v[6:7]
	v_mul_f64 v[16:17], v[0:1], v[6:7]
	v_fma_f64 v[14:15], v[0:1], v[4:5], -v[14:15]
	v_fmac_f64_e32 v[16:17], v[2:3], v[4:5]
	global_load_dwordx4 v[4:7], v[18:19], off offset:1728
	ds_read_b128 v[0:3], v208 offset:13552
	ds_write_b128 v208, v[14:17] offset:12320
	;; [unrolled: 8-line block ×3, first 2 shown]
	s_waitcnt vmcnt(0) lgkmcnt(1)
	v_mul_f64 v[14:15], v[2:3], v[6:7]
	v_mul_f64 v[16:17], v[0:1], v[6:7]
	v_fma_f64 v[14:15], v[0:1], v[4:5], -v[14:15]
	v_fmac_f64_e32 v[16:17], v[2:3], v[4:5]
	ds_write_b128 v208, v[14:17] offset:14784
	v_add_co_u32_e32 v16, vcc, s6, v12
	ds_read_b128 v[0:3], v208 offset:16016
	s_nop 0
	v_addc_co_u32_e32 v17, vcc, 0, v13, vcc
	global_load_dwordx4 v[4:7], v[16:17], off offset:96
	global_load_dwordx4 v[160:163], v[16:17], off offset:3792
	s_waitcnt vmcnt(1) lgkmcnt(0)
	v_mul_f64 v[12:13], v[2:3], v[6:7]
	v_mul_f64 v[14:15], v[0:1], v[6:7]
	v_fma_f64 v[12:13], v[0:1], v[4:5], -v[12:13]
	v_fmac_f64_e32 v[14:15], v[2:3], v[4:5]
	global_load_dwordx4 v[4:7], v[16:17], off offset:1328
	ds_read_b128 v[0:3], v208 offset:17248
	ds_write_b128 v208, v[12:15] offset:16016
	s_waitcnt vmcnt(0) lgkmcnt(1)
	v_mul_f64 v[12:13], v[2:3], v[6:7]
	v_mul_f64 v[14:15], v[0:1], v[6:7]
	v_fma_f64 v[12:13], v[0:1], v[4:5], -v[12:13]
	v_fmac_f64_e32 v[14:15], v[2:3], v[4:5]
	global_load_dwordx4 v[4:7], v[16:17], off offset:2560
	ds_read_b128 v[0:3], v208 offset:18480
	ds_write_b128 v208, v[12:15] offset:17248
	s_waitcnt vmcnt(0) lgkmcnt(1)
	v_mul_f64 v[12:13], v[2:3], v[6:7]
	v_mul_f64 v[14:15], v[0:1], v[6:7]
	v_fma_f64 v[12:13], v[0:1], v[4:5], -v[12:13]
	v_fmac_f64_e32 v[14:15], v[2:3], v[4:5]
	v_mul_f64 v[0:1], v[158:159], v[162:163]
	v_mul_f64 v[2:3], v[156:157], v[162:163]
	v_fma_f64 v[0:1], v[156:157], v[160:161], -v[0:1]
	v_fmac_f64_e32 v[2:3], v[158:159], v[160:161]
	ds_write_b128 v208, v[12:15] offset:18480
	ds_write_b128 v208, v[0:3] offset:19712
.LBB0_13:
	s_or_b64 exec, exec, s[0:1]
	s_waitcnt lgkmcnt(0)
	s_barrier
	s_and_saveexec_b64 s[0:1], s[4:5]
	s_cbranch_execz .LBB0_15
; %bb.14:
	ds_read_b128 v[112:115], v208
	ds_read_b128 v[116:119], v208 offset:1232
	ds_read_b128 v[120:123], v208 offset:2464
	;; [unrolled: 1-line block ×16, first 2 shown]
.LBB0_15:
	s_or_b64 exec, exec, s[0:1]
	s_mov_b32 s18, 0xeb564b22
	s_mov_b32 s24, 0x6c9a05f6
	s_waitcnt lgkmcnt(0)
	v_add_f64 v[216:217], v[118:119], -v[38:39]
	s_mov_b32 s0, 0x3259b75e
	s_mov_b32 s19, 0xbfefdd0d
	;; [unrolled: 1-line block ×4, first 2 shown]
	v_add_f64 v[214:215], v[118:119], v[38:39]
	s_mov_b32 s1, 0x3fb79ee6
	v_mul_f64 v[0:1], v[216:217], s[18:19]
	s_mov_b32 s22, 0x923c349f
	s_mov_b32 s17, 0xbfe348c8
	v_mul_f64 v[8:9], v[216:217], s[24:25]
	s_mov_b32 s30, 0xacd6c6b4
	v_add_f64 v[212:213], v[116:117], v[36:37]
	v_mul_f64 v[2:3], v[214:215], s[0:1]
	v_accvgpr_write_b32 a13, v1
	s_mov_b32 s6, 0xc61f0d01
	s_mov_b32 s23, 0xbfeec746
	v_mul_f64 v[10:11], v[214:215], s[16:17]
	v_accvgpr_write_b32 a2, v8
	s_mov_b32 s31, 0xbfc7851a
	s_mov_b32 s28, 0x7faef3
	v_add_f64 v[222:223], v[122:123], -v[42:43]
	v_add_f64 v[218:219], v[116:117], -v[36:37]
	v_accvgpr_write_b32 a12, v0
	v_fma_f64 v[0:1], v[212:213], s[0:1], -v[0:1]
	v_accvgpr_write_b32 a15, v3
	s_mov_b32 s7, 0xbfd183b1
	v_mul_f64 v[4:5], v[216:217], s[22:23]
	v_accvgpr_write_b32 a3, v9
	v_fma_f64 v[12:13], v[212:213], s[16:17], -v[8:9]
	v_accvgpr_write_b32 a6, v10
	s_mov_b32 s26, 0x4363dd80
	s_mov_b32 s29, 0xbfef7484
	v_add_f64 v[220:221], v[120:121], v[40:41]
	v_add_f64 v[210:211], v[122:123], v[42:43]
	v_mul_f64 v[8:9], v[222:223], s[30:31]
	v_add_f64 v[0:1], v[112:113], v[0:1]
	v_accvgpr_write_b32 a14, v2
	v_fma_f64 v[2:3], s[18:19], v[218:219], v[2:3]
	v_mul_f64 v[6:7], v[214:215], s[6:7]
	v_accvgpr_write_b32 a53, v5
	v_accvgpr_write_b32 a7, v11
	v_fma_f64 v[14:15], s[24:25], v[218:219], v[10:11]
	s_mov_b32 s27, 0xbfe0d888
	s_mov_b32 s20, 0x910ea3b9
	;; [unrolled: 1-line block ×4, first 2 shown]
	v_add_f64 v[224:225], v[120:121], -v[40:41]
	v_mul_f64 v[10:11], v[210:211], s[28:29]
	v_accvgpr_write_b32 a55, v9
	v_fma_f64 v[32:33], v[220:221], s[28:29], -v[8:9]
	v_add_f64 v[2:3], v[114:115], v[2:3]
	v_accvgpr_write_b32 a52, v4
	v_fma_f64 v[4:5], v[212:213], s[6:7], -v[4:5]
	v_accvgpr_write_b32 a4, v6
	s_mov_b32 s21, 0xbfeb34fa
	v_accvgpr_write_b32 a54, v8
	v_add_f64 v[0:1], v[32:33], v[0:1]
	v_fma_f64 v[32:33], s[30:31], v[224:225], v[10:11]
	v_mul_f64 v[8:9], v[222:223], s[36:37]
	v_add_f64 v[4:5], v[112:113], v[4:5]
	v_accvgpr_write_b32 a5, v7
	v_fma_f64 v[6:7], s[22:23], v[218:219], v[6:7]
	v_add_f64 v[2:3], v[32:33], v[2:3]
	v_mul_f64 v[188:189], v[210:211], s[20:21]
	v_fma_f64 v[32:33], v[220:221], s[20:21], -v[8:9]
	s_mov_b32 s47, 0x3feec746
	s_mov_b32 s46, s22
	v_add_f64 v[6:7], v[114:115], v[6:7]
	v_add_f64 v[4:5], v[32:33], v[4:5]
	v_fma_f64 v[32:33], s[36:37], v[224:225], v[188:189]
	v_mul_f64 v[52:53], v[222:223], s[46:47]
	v_add_f64 v[12:13], v[112:113], v[12:13]
	v_add_f64 v[6:7], v[32:33], v[6:7]
	v_mul_f64 v[54:55], v[210:211], s[6:7]
	v_fma_f64 v[32:33], v[220:221], s[6:7], -v[52:53]
	s_mov_b32 s48, 0x7c9e640b
	v_add_f64 v[14:15], v[114:115], v[14:15]
	v_mul_f64 v[16:17], v[216:217], s[26:27]
	v_add_f64 v[12:13], v[32:33], v[12:13]
	v_fma_f64 v[32:33], s[46:47], v[224:225], v[54:55]
	s_mov_b32 s49, 0x3feca52d
	s_mov_b32 s34, 0x2b2883cd
	v_fma_f64 v[18:19], s[20:21], v[212:213], v[16:17]
	v_add_f64 v[14:15], v[32:33], v[14:15]
	v_mul_f64 v[32:33], v[222:223], s[48:49]
	s_mov_b32 s35, 0x3fdc86fa
	v_add_f64 v[18:19], v[112:113], v[18:19]
	v_mul_f64 v[20:21], v[214:215], s[20:21]
	v_fma_f64 v[16:17], v[212:213], s[20:21], -v[16:17]
	v_fma_f64 v[34:35], s[34:35], v[220:221], v[32:33]
	s_mov_b32 s52, 0x5d8e7cdc
	v_fma_f64 v[22:23], s[36:37], v[218:219], v[20:21]
	v_add_f64 v[16:17], v[112:113], v[16:17]
	v_fmac_f64_e32 v[20:21], s[26:27], v[218:219]
	v_mul_f64 v[24:25], v[216:217], s[30:31]
	v_add_f64 v[18:19], v[34:35], v[18:19]
	v_mul_f64 v[34:35], v[210:211], s[34:35]
	s_mov_b32 s41, 0xbfeca52d
	s_mov_b32 s40, s48
	v_fma_f64 v[32:33], v[220:221], s[34:35], -v[32:33]
	s_mov_b32 s53, 0x3fd71e95
	s_mov_b32 s38, 0x370991
	v_add_f64 v[20:21], v[114:115], v[20:21]
	v_fma_f64 v[26:27], s[28:29], v[212:213], v[24:25]
	v_fma_f64 v[24:25], v[212:213], s[28:29], -v[24:25]
	v_fma_f64 v[156:157], s[40:41], v[224:225], v[34:35]
	v_add_f64 v[16:17], v[32:33], v[16:17]
	v_fmac_f64_e32 v[34:35], s[48:49], v[224:225]
	v_mul_f64 v[32:33], v[222:223], s[52:53]
	s_mov_b32 s39, 0x3fedd6d0
	v_add_f64 v[230:231], v[126:127], -v[46:47]
	v_add_f64 v[24:25], v[112:113], v[24:25]
	v_add_f64 v[20:21], v[34:35], v[20:21]
	v_fma_f64 v[34:35], s[38:39], v[220:221], v[32:33]
	v_fma_f64 v[32:33], v[220:221], s[38:39], -v[32:33]
	v_add_f64 v[226:227], v[124:125], v[44:45]
	v_add_f64 v[228:229], v[126:127], v[46:47]
	v_mul_f64 v[58:59], v[230:231], s[46:47]
	s_mov_b32 s56, 0x2a9d6da3
	v_accvgpr_write_b32 a8, v8
	v_add_f64 v[24:25], v[32:33], v[24:25]
	v_add_f64 v[232:233], v[124:125], -v[44:45]
	v_mul_f64 v[56:57], v[228:229], s[6:7]
	v_fma_f64 v[32:33], v[226:227], s[6:7], -v[58:59]
	s_mov_b32 s42, 0x75d4884
	s_mov_b32 s57, 0x3fe58eea
	v_accvgpr_write_b32 a69, v11
	v_accvgpr_write_b32 a9, v9
	v_add_f64 v[0:1], v[32:33], v[0:1]
	v_fma_f64 v[32:33], s[46:47], v[232:233], v[56:57]
	s_mov_b32 s43, 0x3fe7a5f6
	v_mul_f64 v[8:9], v[230:231], s[56:57]
	v_accvgpr_write_b32 a68, v10
	s_mov_b32 s45, 0xbfd71e95
	s_mov_b32 s44, s52
	v_add_f64 v[2:3], v[32:33], v[2:3]
	v_mul_f64 v[10:11], v[228:229], s[42:43]
	v_accvgpr_write_b32 a11, v9
	v_fma_f64 v[32:33], v[226:227], s[42:43], -v[8:9]
	v_accvgpr_write_b32 a10, v8
	v_add_f64 v[4:5], v[32:33], v[4:5]
	v_accvgpr_write_b32 a59, v11
	v_fma_f64 v[32:33], s[56:57], v[232:233], v[10:11]
	v_mul_f64 v[8:9], v[230:231], s[44:45]
	v_add_f64 v[26:27], v[112:113], v[26:27]
	v_mul_f64 v[28:29], v[214:215], s[28:29]
	s_mov_b32 s51, 0x3fc7851a
	s_mov_b32 s50, s30
	v_accvgpr_write_b32 a58, v10
	v_add_f64 v[6:7], v[32:33], v[6:7]
	v_mul_f64 v[10:11], v[228:229], s[38:39]
	v_fma_f64 v[32:33], v[226:227], s[38:39], -v[8:9]
	v_add_f64 v[22:23], v[114:115], v[22:23]
	v_fma_f64 v[30:31], s[50:51], v[218:219], v[28:29]
	v_fmac_f64_e32 v[28:29], s[30:31], v[218:219]
	v_add_f64 v[26:27], v[34:35], v[26:27]
	v_mul_f64 v[34:35], v[210:211], s[38:39]
	v_add_f64 v[12:13], v[32:33], v[12:13]
	v_fma_f64 v[32:33], s[44:45], v[232:233], v[10:11]
	v_add_f64 v[28:29], v[114:115], v[28:29]
	v_add_f64 v[22:23], v[156:157], v[22:23]
	v_fma_f64 v[156:157], s[44:45], v[224:225], v[34:35]
	v_fmac_f64_e32 v[34:35], s[52:53], v[224:225]
	v_add_f64 v[14:15], v[32:33], v[14:15]
	v_mul_f64 v[32:33], v[230:231], s[18:19]
	v_add_f64 v[28:29], v[34:35], v[28:29]
	v_fma_f64 v[34:35], s[0:1], v[226:227], v[32:33]
	v_add_f64 v[30:31], v[114:115], v[30:31]
	v_add_f64 v[18:19], v[34:35], v[18:19]
	v_mul_f64 v[34:35], v[228:229], s[0:1]
	s_mov_b32 s59, 0x3fefdd0d
	s_mov_b32 s58, s18
	v_fma_f64 v[32:33], v[226:227], s[0:1], -v[32:33]
	v_add_f64 v[30:31], v[156:157], v[30:31]
	v_accvgpr_write_b32 a17, v9
	v_fma_f64 v[156:157], s[58:59], v[232:233], v[34:35]
	v_add_f64 v[16:17], v[32:33], v[16:17]
	v_fmac_f64_e32 v[34:35], s[18:19], v[232:233]
	v_mul_f64 v[32:33], v[230:231], s[26:27]
	v_add_f64 v[238:239], v[130:131], -v[110:111]
	v_accvgpr_write_b32 a16, v8
	v_accvgpr_write_b32 a19, v11
	v_add_f64 v[20:21], v[34:35], v[20:21]
	v_fma_f64 v[34:35], s[20:21], v[226:227], v[32:33]
	v_fma_f64 v[32:33], v[226:227], s[20:21], -v[32:33]
	v_add_f64 v[234:235], v[128:129], v[108:109]
	v_add_f64 v[236:237], v[130:131], v[110:111]
	v_mul_f64 v[8:9], v[238:239], s[52:53]
	v_accvgpr_write_b32 a18, v10
	v_add_f64 v[24:25], v[32:33], v[24:25]
	v_add_f64 v[240:241], v[128:129], -v[108:109]
	v_mul_f64 v[10:11], v[236:237], s[38:39]
	v_accvgpr_write_b32 a79, v9
	v_fma_f64 v[32:33], v[234:235], s[38:39], -v[8:9]
	v_accvgpr_write_b32 a78, v8
	v_add_f64 v[0:1], v[32:33], v[0:1]
	v_accvgpr_write_b32 a81, v11
	v_fma_f64 v[32:33], s[52:53], v[240:241], v[10:11]
	v_mul_f64 v[8:9], v[238:239], s[40:41]
	v_accvgpr_write_b32 a80, v10
	v_add_f64 v[2:3], v[32:33], v[2:3]
	v_mul_f64 v[10:11], v[236:237], s[34:35]
	v_accvgpr_write_b32 a83, v9
	v_fma_f64 v[32:33], v[234:235], s[34:35], -v[8:9]
	v_accvgpr_write_b32 a82, v8
	v_add_f64 v[4:5], v[32:33], v[4:5]
	v_accvgpr_write_b32 a61, v11
	v_fma_f64 v[32:33], s[40:41], v[240:241], v[10:11]
	v_mul_f64 v[8:9], v[238:239], s[26:27]
	v_accvgpr_write_b32 a60, v10
	v_add_f64 v[6:7], v[32:33], v[6:7]
	v_mul_f64 v[10:11], v[236:237], s[20:21]
	v_fma_f64 v[32:33], v[234:235], s[20:21], -v[8:9]
	v_add_f64 v[26:27], v[34:35], v[26:27]
	v_mul_f64 v[34:35], v[228:229], s[20:21]
	v_add_f64 v[12:13], v[32:33], v[12:13]
	v_fma_f64 v[32:33], s[26:27], v[240:241], v[10:11]
	s_mov_b32 s61, 0x3fe9895b
	s_mov_b32 s60, s24
	v_add_f64 v[22:23], v[156:157], v[22:23]
	v_fma_f64 v[156:157], s[36:37], v[232:233], v[34:35]
	v_fmac_f64_e32 v[34:35], s[26:27], v[232:233]
	v_add_f64 v[14:15], v[32:33], v[14:15]
	v_mul_f64 v[32:33], v[238:239], s[60:61]
	v_add_f64 v[28:29], v[34:35], v[28:29]
	v_fma_f64 v[34:35], s[16:17], v[234:235], v[32:33]
	v_add_f64 v[18:19], v[34:35], v[18:19]
	v_mul_f64 v[34:35], v[236:237], s[16:17]
	v_fma_f64 v[32:33], v[234:235], s[16:17], -v[32:33]
	v_add_f64 v[30:31], v[156:157], v[30:31]
	v_accvgpr_write_b32 a21, v9
	v_fma_f64 v[156:157], s[24:25], v[240:241], v[34:35]
	v_add_f64 v[16:17], v[32:33], v[16:17]
	v_fmac_f64_e32 v[34:35], s[60:61], v[240:241]
	v_mul_f64 v[32:33], v[238:239], s[56:57]
	v_add_f64 v[246:247], v[142:143], -v[106:107]
	v_accvgpr_write_b32 a20, v8
	v_accvgpr_write_b32 a23, v11
	v_add_f64 v[20:21], v[34:35], v[20:21]
	v_fma_f64 v[34:35], s[42:43], v[234:235], v[32:33]
	v_fma_f64 v[32:33], v[234:235], s[42:43], -v[32:33]
	v_add_f64 v[242:243], v[140:141], v[104:105]
	v_add_f64 v[244:245], v[142:143], v[106:107]
	v_mul_f64 v[8:9], v[246:247], s[40:41]
	v_accvgpr_write_b32 a22, v10
	v_add_f64 v[24:25], v[32:33], v[24:25]
	v_add_f64 v[248:249], v[140:141], -v[104:105]
	v_mul_f64 v[10:11], v[244:245], s[34:35]
	v_accvgpr_write_b32 a85, v9
	v_fma_f64 v[32:33], v[242:243], s[34:35], -v[8:9]
	v_accvgpr_write_b32 a84, v8
	v_add_f64 v[0:1], v[32:33], v[0:1]
	v_accvgpr_write_b32 a87, v11
	v_fma_f64 v[32:33], s[40:41], v[248:249], v[10:11]
	v_mul_f64 v[8:9], v[246:247], s[30:31]
	v_accvgpr_write_b32 a86, v10
	v_add_f64 v[2:3], v[32:33], v[2:3]
	v_mul_f64 v[10:11], v[244:245], s[28:29]
	v_accvgpr_write_b32 a65, v9
	v_fma_f64 v[32:33], v[242:243], s[28:29], -v[8:9]
	v_accvgpr_write_b32 a64, v8
	v_add_f64 v[4:5], v[32:33], v[4:5]
	v_fma_f64 v[32:33], s[30:31], v[248:249], v[10:11]
	v_mul_f64 v[8:9], v[246:247], s[58:59]
	v_add_f64 v[6:7], v[32:33], v[6:7]
	v_mul_f64 v[184:185], v[244:245], s[0:1]
	v_fma_f64 v[32:33], v[242:243], s[0:1], -v[8:9]
	v_add_f64 v[26:27], v[34:35], v[26:27]
	v_mul_f64 v[34:35], v[236:237], s[42:43]
	s_mov_b32 s55, 0xbfe58eea
	s_mov_b32 s54, s56
	v_add_f64 v[32:33], v[32:33], v[12:13]
	v_fma_f64 v[12:13], s[58:59], v[248:249], v[184:185]
	v_add_f64 v[22:23], v[156:157], v[22:23]
	v_fma_f64 v[156:157], s[54:55], v[240:241], v[34:35]
	v_fmac_f64_e32 v[34:35], s[56:57], v[240:241]
	v_add_f64 v[14:15], v[12:13], v[14:15]
	v_mul_f64 v[12:13], v[246:247], s[44:45]
	v_add_f64 v[28:29], v[34:35], v[28:29]
	v_fma_f64 v[34:35], s[38:39], v[242:243], v[12:13]
	v_add_f64 v[18:19], v[34:35], v[18:19]
	v_mul_f64 v[34:35], v[244:245], s[38:39]
	v_fma_f64 v[12:13], v[242:243], s[38:39], -v[12:13]
	v_add_f64 v[30:31], v[156:157], v[30:31]
	v_fma_f64 v[156:157], s[52:53], v[248:249], v[34:35]
	v_add_f64 v[16:17], v[12:13], v[16:17]
	v_fmac_f64_e32 v[34:35], s[44:45], v[248:249]
	v_mul_f64 v[12:13], v[246:247], s[24:25]
	v_add_f64 v[20:21], v[34:35], v[20:21]
	v_fma_f64 v[34:35], s[16:17], v[242:243], v[12:13]
	v_accvgpr_write_b32 a67, v9
	v_add_f64 v[26:27], v[34:35], v[26:27]
	v_mul_f64 v[34:35], v[244:245], s[16:17]
	v_add_f64 v[254:255], v[154:155], -v[102:103]
	v_accvgpr_write_b32 a63, v11
	v_accvgpr_write_b32 a66, v8
	v_add_f64 v[22:23], v[156:157], v[22:23]
	v_fma_f64 v[156:157], s[60:61], v[248:249], v[34:35]
	v_fma_f64 v[12:13], v[242:243], s[16:17], -v[12:13]
	v_fmac_f64_e32 v[34:35], s[24:25], v[248:249]
	v_add_f64 v[252:253], v[152:153], v[100:101]
	v_add_f64 v[250:251], v[154:155], v[102:103]
	v_mul_f64 v[8:9], v[254:255], s[26:27]
	v_accvgpr_write_b32 a62, v10
	v_add_f64 v[24:25], v[12:13], v[24:25]
	v_add_f64 v[28:29], v[34:35], v[28:29]
	v_add_f64 v[12:13], v[152:153], -v[100:101]
	v_mul_f64 v[10:11], v[250:251], s[20:21]
	v_accvgpr_write_b32 a89, v9
	v_fma_f64 v[34:35], v[252:253], s[20:21], -v[8:9]
	v_accvgpr_write_b32 a88, v8
	v_add_f64 v[0:1], v[34:35], v[0:1]
	v_accvgpr_write_b32 a91, v11
	v_fma_f64 v[34:35], s[26:27], v[12:13], v[10:11]
	v_mul_f64 v[8:9], v[254:255], s[58:59]
	v_accvgpr_write_b32 a90, v10
	v_add_f64 v[2:3], v[34:35], v[2:3]
	v_mul_f64 v[10:11], v[250:251], s[0:1]
	v_fma_f64 v[34:35], v[252:253], s[0:1], -v[8:9]
	v_add_f64 v[4:5], v[34:35], v[4:5]
	v_fma_f64 v[34:35], s[58:59], v[12:13], v[10:11]
	v_mul_f64 v[186:187], v[254:255], s[54:55]
	v_add_f64 v[6:7], v[34:35], v[6:7]
	v_mul_f64 v[194:195], v[250:251], s[42:43]
	v_fma_f64 v[34:35], v[252:253], s[42:43], -v[186:187]
	v_add_f64 v[32:33], v[34:35], v[32:33]
	v_fma_f64 v[34:35], s[54:55], v[12:13], v[194:195]
	v_add_f64 v[30:31], v[156:157], v[30:31]
	v_add_f64 v[156:157], v[34:35], v[14:15]
	v_mul_f64 v[14:15], v[254:255], s[30:31]
	v_fma_f64 v[34:35], s[28:29], v[252:253], v[14:15]
	v_fma_f64 v[14:15], v[252:253], s[28:29], -v[14:15]
	v_add_f64 v[160:161], v[14:15], v[16:17]
	v_mul_f64 v[14:15], v[254:255], s[48:49]
	v_add_f64 v[158:159], v[34:35], v[18:19]
	v_mul_f64 v[18:19], v[250:251], s[28:29]
	v_fma_f64 v[16:17], s[34:35], v[252:253], v[14:15]
	v_fma_f64 v[34:35], s[50:51], v[12:13], v[18:19]
	v_fmac_f64_e32 v[18:19], s[30:31], v[12:13]
	v_add_f64 v[26:27], v[16:17], v[26:27]
	v_mul_f64 v[16:17], v[250:251], s[34:35]
	v_add_f64 v[162:163], v[18:19], v[20:21]
	v_fma_f64 v[18:19], s[40:41], v[12:13], v[16:17]
	v_accvgpr_write_b32 a93, v9
	v_add_f64 v[164:165], v[18:19], v[30:31]
	v_fma_f64 v[14:15], v[252:253], s[34:35], -v[14:15]
	v_fmac_f64_e32 v[16:17], s[48:49], v[12:13]
	v_add_f64 v[18:19], v[150:151], -v[134:135]
	v_accvgpr_write_b32 a92, v8
	v_accvgpr_write_b32 a97, v11
	v_add_f64 v[24:25], v[14:15], v[24:25]
	v_add_f64 v[28:29], v[16:17], v[28:29]
	;; [unrolled: 1-line block ×4, first 2 shown]
	v_mul_f64 v[8:9], v[18:19], s[60:61]
	v_accvgpr_write_b32 a96, v10
	v_add_f64 v[20:21], v[148:149], -v[132:133]
	v_mul_f64 v[10:11], v[16:17], s[16:17]
	v_accvgpr_write_b32 a95, v9
	v_fma_f64 v[30:31], v[14:15], s[16:17], -v[8:9]
	v_accvgpr_write_b32 a94, v8
	v_add_f64 v[0:1], v[30:31], v[0:1]
	v_fma_f64 v[30:31], s[60:61], v[20:21], v[10:11]
	v_mul_f64 v[8:9], v[18:19], s[44:45]
	v_add_f64 v[22:23], v[34:35], v[22:23]
	v_add_f64 v[2:3], v[30:31], v[2:3]
	v_mul_f64 v[30:31], v[16:17], s[38:39]
	v_fma_f64 v[34:35], v[14:15], s[38:39], -v[8:9]
	v_add_f64 v[4:5], v[34:35], v[4:5]
	v_fma_f64 v[34:35], s[44:45], v[20:21], v[30:31]
	v_add_f64 v[168:169], v[34:35], v[6:7]
	v_mul_f64 v[34:35], v[18:19], s[30:31]
	v_mul_f64 v[198:199], v[16:17], s[28:29]
	v_fma_f64 v[6:7], v[14:15], s[28:29], -v[34:35]
	v_add_f64 v[170:171], v[6:7], v[32:33]
	v_fma_f64 v[6:7], s[30:31], v[20:21], v[198:199]
	v_accvgpr_write_b32 a99, v11
	v_add_f64 v[176:177], v[6:7], v[156:157]
	v_mul_f64 v[6:7], v[18:19], s[56:57]
	v_accvgpr_write_b32 a98, v10
	v_accvgpr_write_b32 a101, v9
	v_fma_f64 v[32:33], s[42:43], v[14:15], v[6:7]
	v_mul_f64 v[10:11], v[16:17], s[42:43]
	v_accvgpr_write_b32 a100, v8
	v_add_f64 v[8:9], v[32:33], v[158:159]
	v_fma_f64 v[32:33], s[54:55], v[20:21], v[10:11]
	v_fmac_f64_e32 v[10:11], s[56:57], v[20:21]
	v_fma_f64 v[6:7], v[14:15], s[42:43], -v[6:7]
	v_add_f64 v[174:175], v[10:11], v[162:163]
	v_mul_f64 v[10:11], v[18:19], s[22:23]
	v_add_f64 v[190:191], v[32:33], v[22:23]
	v_add_f64 v[172:173], v[6:7], v[160:161]
	v_fma_f64 v[6:7], s[6:7], v[14:15], v[10:11]
	v_mul_f64 v[22:23], v[16:17], s[6:7]
	v_add_f64 v[6:7], v[6:7], v[26:27]
	v_fma_f64 v[26:27], s[46:47], v[20:21], v[22:23]
	v_add_f64 v[178:179], v[26:27], v[164:165]
	v_fma_f64 v[10:11], v[14:15], s[6:7], -v[10:11]
	v_add_f64 v[26:27], v[146:147], -v[138:139]
	v_add_f64 v[180:181], v[10:11], v[24:25]
	v_fmac_f64_e32 v[22:23], s[22:23], v[20:21]
	v_mul_f64 v[10:11], v[26:27], s[56:57]
	v_add_f64 v[182:183], v[22:23], v[28:29]
	v_add_f64 v[22:23], v[144:145], v[136:137]
	;; [unrolled: 1-line block ×3, first 2 shown]
	v_accvgpr_write_b32 a103, v11
	v_add_f64 v[28:29], v[144:145], -v[136:137]
	v_mul_f64 v[32:33], v[24:25], s[42:43]
	v_accvgpr_write_b32 a102, v10
	v_fma_f64 v[10:11], v[22:23], s[42:43], -v[10:11]
	v_add_f64 v[164:165], v[10:11], v[0:1]
	v_fma_f64 v[0:1], s[56:57], v[28:29], v[32:33]
	v_mul_f64 v[196:197], v[26:27], s[24:25]
	v_add_f64 v[166:167], v[0:1], v[2:3]
	v_mul_f64 v[0:1], v[24:25], s[16:17]
	v_fma_f64 v[2:3], v[22:23], s[16:17], -v[196:197]
	v_add_f64 v[160:161], v[2:3], v[4:5]
	v_fma_f64 v[2:3], s[24:25], v[28:29], v[0:1]
	v_add_f64 v[162:163], v[2:3], v[168:169]
	v_mul_f64 v[2:3], v[26:27], s[48:49]
	v_mul_f64 v[4:5], v[24:25], s[34:35]
	v_fma_f64 v[10:11], v[22:23], s[34:35], -v[2:3]
	v_add_f64 v[156:157], v[10:11], v[170:171]
	v_fma_f64 v[10:11], s[48:49], v[28:29], v[4:5]
	v_add_f64 v[158:159], v[10:11], v[176:177]
	v_mul_f64 v[10:11], v[26:27], s[22:23]
	v_fma_f64 v[168:169], s[6:7], v[22:23], v[10:11]
	v_add_f64 v[168:169], v[168:169], v[8:9]
	v_mul_f64 v[8:9], v[24:25], s[6:7]
	v_fma_f64 v[170:171], s[46:47], v[28:29], v[8:9]
	v_fmac_f64_e32 v[8:9], s[22:23], v[28:29]
	v_fma_f64 v[10:11], v[22:23], s[6:7], -v[10:11]
	v_add_f64 v[174:175], v[8:9], v[174:175]
	v_mul_f64 v[8:9], v[26:27], s[58:59]
	v_add_f64 v[172:173], v[10:11], v[172:173]
	v_fma_f64 v[10:11], s[0:1], v[22:23], v[8:9]
	v_add_f64 v[176:177], v[10:11], v[6:7]
	v_mul_f64 v[6:7], v[24:25], s[0:1]
	v_fma_f64 v[10:11], s[18:19], v[28:29], v[6:7]
	v_fma_f64 v[8:9], v[22:23], s[0:1], -v[8:9]
	v_fmac_f64_e32 v[6:7], s[58:59], v[28:29]
	v_add_f64 v[170:171], v[170:171], v[190:191]
	v_add_f64 v[178:179], v[10:11], v[178:179]
	v_add_f64 v[180:181], v[8:9], v[180:181]
	v_add_f64 v[182:183], v[6:7], v[182:183]
	s_barrier
	s_and_saveexec_b64 s[62:63], s[4:5]
	s_cbranch_execz .LBB0_17
; %bb.16:
	v_mul_f64 v[8:9], v[12:13], s[54:55]
	v_mul_f64 v[10:11], v[248:249], s[58:59]
	v_accvgpr_read_b32 v191, a23
	v_add_f64 v[8:9], v[194:195], -v[8:9]
	v_add_f64 v[10:11], v[184:185], -v[10:11]
	v_mul_f64 v[184:185], v[240:241], s[26:27]
	v_accvgpr_read_b32 v190, a22
	v_accvgpr_read_b32 v195, a19
	v_add_f64 v[184:185], v[190:191], -v[184:185]
	v_mul_f64 v[190:191], v[232:233], s[44:45]
	v_accvgpr_read_b32 v194, a18
	v_mul_f64 v[6:7], v[28:29], s[48:49]
	v_add_f64 v[190:191], v[194:195], -v[190:191]
	v_mul_f64 v[194:195], v[224:225], s[46:47]
	v_add_f64 v[4:5], v[4:5], -v[6:7]
	;; [unrolled: 2-line block ×3, first 2 shown]
	v_mov_b64_e32 v[54:55], v[58:59]
	v_mov_b64_e32 v[58:59], v[56:57]
	;; [unrolled: 1-line block ×3, first 2 shown]
	v_accvgpr_read_b32 v189, a7
	v_add_f64 v[6:7], v[198:199], -v[6:7]
	v_mul_f64 v[198:199], v[218:219], s[24:25]
	v_accvgpr_read_b32 v188, a6
	v_add_f64 v[198:199], v[188:189], -v[198:199]
	v_add_f64 v[198:199], v[114:115], v[198:199]
	v_add_f64 v[194:195], v[194:195], v[198:199]
	;; [unrolled: 1-line block ×7, first 2 shown]
	v_mul_f64 v[8:9], v[22:23], s[34:35]
	v_add_f64 v[2:3], v[8:9], v[2:3]
	v_mul_f64 v[8:9], v[14:15], s[28:29]
	v_add_f64 v[8:9], v[8:9], v[34:35]
	v_mul_f64 v[34:35], v[252:253], s[42:43]
	v_add_f64 v[34:35], v[34:35], v[186:187]
	v_accvgpr_read_b32 v187, a67
	v_mul_f64 v[184:185], v[242:243], s[0:1]
	v_accvgpr_read_b32 v186, a66
	v_accvgpr_read_b32 v189, a21
	v_add_f64 v[184:185], v[184:185], v[186:187]
	v_mul_f64 v[186:187], v[234:235], s[20:21]
	v_accvgpr_read_b32 v188, a20
	v_add_f64 v[186:187], v[186:187], v[188:189]
	v_accvgpr_read_b32 v189, a17
	v_accvgpr_read_b32 v188, a16
	v_accvgpr_write_b32 a16, v200
	v_accvgpr_write_b32 a17, v201
	;; [unrolled: 1-line block ×4, first 2 shown]
	v_accvgpr_read_b32 v203, a3
	v_mul_f64 v[200:201], v[212:213], s[16:17]
	v_accvgpr_read_b32 v202, a2
	v_mul_f64 v[198:199], v[220:221], s[6:7]
	v_add_f64 v[200:201], v[200:201], v[202:203]
	v_mul_f64 v[190:191], v[226:227], s[38:39]
	v_add_f64 v[198:199], v[198:199], v[52:53]
	v_add_f64 v[200:201], v[112:113], v[200:201]
	;; [unrolled: 1-line block ×10, first 2 shown]
	v_mul_f64 v[4:5], v[28:29], s[24:25]
	v_add_f64 v[184:185], v[2:3], v[8:9]
	v_add_f64 v[0:1], v[0:1], -v[4:5]
	v_mul_f64 v[4:5], v[20:21], s[44:45]
	v_accvgpr_read_b32 v8, a96
	v_add_f64 v[4:5], v[30:31], -v[4:5]
	v_mul_f64 v[6:7], v[12:13], s[58:59]
	v_accvgpr_read_b32 v9, a97
	v_accvgpr_read_b32 v30, a62
	v_add_f64 v[6:7], v[8:9], -v[6:7]
	v_mul_f64 v[8:9], v[248:249], s[30:31]
	v_accvgpr_read_b32 v31, a63
	;; [unrolled: 4-line block ×3, first 2 shown]
	v_add_f64 v[30:31], v[52:53], -v[30:31]
	v_accvgpr_read_b32 v52, a58
	v_accvgpr_mov_b32 a2, a56
	v_accvgpr_read_b32 v53, a59
	v_accvgpr_write_b32 a56, v64
	v_accvgpr_write_b32 a57, v65
	;; [unrolled: 1-line block ×4, first 2 shown]
	v_mov_b64_e32 v[66:67], v[38:39]
	v_mov_b64_e32 v[64:65], v[36:37]
	v_accvgpr_read_b32 v39, a5
	v_accvgpr_write_b32 a20, v204
	v_mul_f64 v[200:201], v[218:219], s[22:23]
	v_accvgpr_read_b32 v38, a4
	v_accvgpr_write_b32 a21, v205
	v_accvgpr_write_b32 a22, v206
	;; [unrolled: 1-line block ×3, first 2 shown]
	v_mul_f64 v[204:205], v[224:225], s[36:37]
	v_add_f64 v[38:39], v[38:39], -v[200:201]
	v_mul_f64 v[188:189], v[232:233], s[56:57]
	v_add_f64 v[204:205], v[56:57], -v[204:205]
	v_add_f64 v[38:39], v[114:115], v[38:39]
	v_add_f64 v[188:189], v[52:53], -v[188:189]
	v_add_f64 v[38:39], v[204:205], v[38:39]
	v_add_f64 v[38:39], v[188:189], v[38:39]
	v_accvgpr_write_b32 a60, v68
	v_accvgpr_write_b32 a61, v69
	;; [unrolled: 1-line block ×4, first 2 shown]
	v_mov_b64_e32 v[70:71], v[42:43]
	v_add_f64 v[30:31], v[30:31], v[38:39]
	v_accvgpr_read_b32 v52, a100
	v_mov_b64_e32 v[68:69], v[40:41]
	v_add_f64 v[8:9], v[8:9], v[30:31]
	v_mul_f64 v[42:43], v[14:15], s[38:39]
	v_accvgpr_read_b32 v53, a101
	v_accvgpr_write_b32 a4, v48
	v_add_f64 v[6:7], v[6:7], v[8:9]
	v_add_f64 v[42:43], v[42:43], v[52:53]
	v_accvgpr_read_b32 v52, a92
	v_accvgpr_write_b32 a5, v49
	v_accvgpr_write_b32 a6, v50
	;; [unrolled: 1-line block ×3, first 2 shown]
	v_accvgpr_read_b32 v51, a9
	v_mul_f64 v[190:191], v[220:221], s[20:21]
	v_add_f64 v[4:5], v[4:5], v[6:7]
	v_mul_f64 v[188:189], v[252:253], s[0:1]
	v_accvgpr_read_b32 v53, a93
	v_accvgpr_read_b32 v50, a8
	v_add_f64 v[188:189], v[188:189], v[52:53]
	v_accvgpr_read_b32 v52, a64
	v_add_f64 v[50:51], v[190:191], v[50:51]
	v_add_f64 v[190:191], v[0:1], v[4:5]
	v_accvgpr_read_b32 v0, a52
	v_mul_f64 v[206:207], v[212:213], s[6:7]
	v_mul_f64 v[30:31], v[242:243], s[28:29]
	v_accvgpr_read_b32 v53, a65
	v_accvgpr_write_b32 a64, v72
	v_accvgpr_read_b32 v1, a53
	v_add_f64 v[30:31], v[30:31], v[52:53]
	v_accvgpr_write_b32 a65, v73
	v_accvgpr_write_b32 a66, v74
	;; [unrolled: 1-line block ×3, first 2 shown]
	v_mov_b64_e32 v[74:75], v[46:47]
	v_accvgpr_read_b32 v53, a11
	v_add_f64 v[0:1], v[206:207], v[0:1]
	v_accvgpr_write_b32 a96, v192
	v_accvgpr_write_b32 a3, v193
	v_mul_f64 v[192:193], v[226:227], s[42:43]
	v_mov_b64_e32 v[72:73], v[44:45]
	v_accvgpr_read_b32 v46, a82
	v_accvgpr_read_b32 v52, a10
	v_add_f64 v[0:1], v[112:113], v[0:1]
	v_mul_f64 v[204:205], v[234:235], s[34:35]
	v_accvgpr_read_b32 v47, a83
	v_add_f64 v[192:193], v[192:193], v[52:53]
	v_add_f64 v[0:1], v[50:51], v[0:1]
	;; [unrolled: 1-line block ×7, first 2 shown]
	v_accvgpr_read_b32 v30, a86
	v_mul_f64 v[38:39], v[248:249], s[40:41]
	v_add_f64 v[0:1], v[42:43], v[0:1]
	v_accvgpr_read_b32 v31, a87
	v_accvgpr_read_b32 v43, a15
	v_mul_f64 v[10:11], v[218:219], s[18:19]
	v_mul_f64 v[6:7], v[22:23], s[16:17]
	v_add_f64 v[30:31], v[30:31], -v[38:39]
	v_accvgpr_read_b32 v38, a68
	v_accvgpr_read_b32 v42, a14
	v_mul_f64 v[198:199], v[224:225], s[30:31]
	v_add_f64 v[6:7], v[6:7], v[196:197]
	v_mul_f64 v[52:53], v[28:29], s[56:57]
	v_accvgpr_read_b32 v39, a69
	v_add_f64 v[10:11], v[42:43], -v[10:11]
	v_mul_f64 v[2:3], v[232:233], s[46:47]
	v_add_f64 v[188:189], v[6:7], v[0:1]
	v_add_f64 v[0:1], v[32:33], -v[52:53]
	v_accvgpr_read_b32 v32, a80
	v_add_f64 v[38:39], v[38:39], -v[198:199]
	v_add_f64 v[10:11], v[114:115], v[10:11]
	v_mul_f64 v[200:201], v[240:241], s[52:53]
	v_accvgpr_read_b32 v33, a81
	v_add_f64 v[2:3], v[58:59], -v[2:3]
	v_add_f64 v[10:11], v[38:39], v[10:11]
	v_accvgpr_read_b32 v6, a90
	v_add_f64 v[32:33], v[32:33], -v[200:201]
	v_add_f64 v[2:3], v[2:3], v[10:11]
	v_mul_f64 v[196:197], v[12:13], s[26:27]
	v_accvgpr_read_b32 v4, a98
	v_accvgpr_read_b32 v7, a91
	v_add_f64 v[2:3], v[32:33], v[2:3]
	v_mul_f64 v[204:205], v[20:21], s[60:61]
	v_accvgpr_read_b32 v5, a99
	v_add_f64 v[6:7], v[6:7], -v[196:197]
	v_add_f64 v[2:3], v[30:31], v[2:3]
	v_add_f64 v[4:5], v[4:5], -v[204:205]
	v_add_f64 v[2:3], v[6:7], v[2:3]
	v_accvgpr_read_b32 v33, a13
	v_mul_f64 v[194:195], v[212:213], s[0:1]
	v_add_f64 v[2:3], v[4:5], v[2:3]
	v_accvgpr_read_b32 v4, a88
	v_accvgpr_read_b32 v30, a54
	;; [unrolled: 1-line block ×3, first 2 shown]
	v_mul_f64 v[202:203], v[220:221], s[28:29]
	v_mul_f64 v[8:9], v[252:253], s[20:21]
	v_add_f64 v[198:199], v[0:1], v[2:3]
	v_accvgpr_read_b32 v0, a102
	v_accvgpr_read_b32 v5, a89
	;; [unrolled: 1-line block ×3, first 2 shown]
	v_add_f64 v[32:33], v[194:195], v[32:33]
	v_mul_f64 v[34:35], v[226:227], s[6:7]
	v_mul_f64 v[48:49], v[22:23], s[42:43]
	v_accvgpr_read_b32 v1, a103
	v_accvgpr_read_b32 v2, a94
	v_add_f64 v[4:5], v[8:9], v[4:5]
	v_accvgpr_read_b32 v8, a78
	v_add_f64 v[30:31], v[202:203], v[30:31]
	v_add_f64 v[32:33], v[112:113], v[32:33]
	v_mul_f64 v[46:47], v[218:219], s[40:41]
	v_mul_f64 v[36:37], v[234:235], s[38:39]
	;; [unrolled: 1-line block ×3, first 2 shown]
	v_add_f64 v[0:1], v[48:49], v[0:1]
	v_accvgpr_read_b32 v3, a95
	v_accvgpr_read_b32 v6, a84
	;; [unrolled: 1-line block ×3, first 2 shown]
	v_add_f64 v[10:11], v[34:35], v[54:55]
	v_add_f64 v[30:31], v[30:31], v[32:33]
	v_mul_f64 v[42:43], v[224:225], s[24:25]
	v_fma_f64 v[48:49], s[34:35], v[214:215], v[46:47]
	v_mul_f64 v[40:41], v[242:243], s[34:35]
	v_add_f64 v[2:3], v[44:45], v[2:3]
	v_accvgpr_read_b32 v7, a85
	v_add_f64 v[8:9], v[36:37], v[8:9]
	v_add_f64 v[10:11], v[10:11], v[30:31]
	v_mul_f64 v[38:39], v[232:233], s[50:51]
	v_fma_f64 v[44:45], s[16:17], v[210:211], v[42:43]
	v_add_f64 v[48:49], v[114:115], v[48:49]
	v_mul_f64 v[204:205], v[216:217], s[40:41]
	v_add_f64 v[6:7], v[40:41], v[6:7]
	v_add_f64 v[8:9], v[8:9], v[10:11]
	v_mul_f64 v[34:35], v[240:241], s[46:47]
	v_fma_f64 v[40:41], s[28:29], v[228:229], v[38:39]
	v_add_f64 v[44:45], v[44:45], v[48:49]
	v_mul_f64 v[200:201], v[222:223], s[24:25]
	v_fma_f64 v[206:207], v[212:213], s[34:35], -v[204:205]
	v_add_f64 v[6:7], v[6:7], v[8:9]
	v_mul_f64 v[30:31], v[248:249], s[56:57]
	v_fma_f64 v[36:37], s[6:7], v[236:237], v[34:35]
	v_add_f64 v[40:41], v[40:41], v[44:45]
	v_mul_f64 v[54:55], v[230:231], s[50:51]
	v_fma_f64 v[202:203], v[220:221], s[16:17], -v[200:201]
	v_add_f64 v[206:207], v[112:113], v[206:207]
	v_add_f64 v[4:5], v[4:5], v[6:7]
	v_mul_f64 v[8:9], v[12:13], s[44:45]
	v_fma_f64 v[32:33], s[42:43], v[244:245], v[30:31]
	v_add_f64 v[36:37], v[36:37], v[40:41]
	v_mul_f64 v[50:51], v[238:239], s[46:47]
	v_fma_f64 v[192:193], v[226:227], s[28:29], -v[54:55]
	v_add_f64 v[202:203], v[202:203], v[206:207]
	;; [unrolled: 7-line block ×4, first 2 shown]
	v_fma_f64 v[2:3], s[20:21], v[24:25], v[0:1]
	v_add_f64 v[6:7], v[6:7], v[10:11]
	v_mul_f64 v[10:11], v[18:19], s[18:19]
	v_fma_f64 v[40:41], v[252:253], s[38:39], -v[36:37]
	v_add_f64 v[48:49], v[48:49], v[52:53]
	v_add_f64 v[194:195], v[2:3], v[6:7]
	v_mul_f64 v[2:3], v[26:27], s[26:27]
	v_fma_f64 v[32:33], v[14:15], s[0:1], -v[10:11]
	v_add_f64 v[40:41], v[40:41], v[48:49]
	v_fma_f64 v[6:7], v[22:23], s[20:21], -v[2:3]
	v_add_f64 v[32:33], v[32:33], v[40:41]
	v_add_f64 v[192:193], v[6:7], v[32:33]
	v_fma_f64 v[32:33], v[228:229], s[28:29], -v[38:39]
	v_fma_f64 v[38:39], v[214:215], s[34:35], -v[46:47]
	;; [unrolled: 1-line block ×6, first 2 shown]
	v_add_f64 v[38:39], v[114:115], v[38:39]
	v_add_f64 v[34:35], v[34:35], v[38:39]
	;; [unrolled: 1-line block ×5, first 2 shown]
	v_fma_f64 v[4:5], v[16:17], s[0:1], -v[4:5]
	v_add_f64 v[6:7], v[6:7], v[8:9]
	v_fma_f64 v[0:1], v[24:25], s[20:21], -v[0:1]
	v_add_f64 v[4:5], v[4:5], v[6:7]
	v_fmac_f64_e32 v[204:205], s[34:35], v[212:213]
	v_add_f64 v[206:207], v[0:1], v[4:5]
	v_fmac_f64_e32 v[200:201], s[16:17], v[220:221]
	;; [unrolled: 2-line block ×4, first 2 shown]
	v_add_f64 v[0:1], v[54:55], v[0:1]
	v_mul_f64 v[46:47], v[218:219], s[54:55]
	v_fmac_f64_e32 v[44:45], s[42:43], v[242:243]
	v_add_f64 v[0:1], v[50:51], v[0:1]
	v_mul_f64 v[42:43], v[224:225], s[18:19]
	v_fma_f64 v[48:49], s[42:43], v[214:215], v[46:47]
	v_accvgpr_write_b32 a52, v60
	v_add_f64 v[0:1], v[44:45], v[0:1]
	v_mul_f64 v[38:39], v[232:233], s[24:25]
	v_fma_f64 v[44:45], s[0:1], v[210:211], v[42:43]
	v_add_f64 v[48:49], v[114:115], v[48:49]
	v_accvgpr_write_b32 a53, v61
	v_accvgpr_write_b32 a54, v62
	;; [unrolled: 1-line block ×3, first 2 shown]
	v_mul_f64 v[60:61], v[216:217], s[54:55]
	v_fmac_f64_e32 v[36:37], s[38:39], v[252:253]
	v_mul_f64 v[34:35], v[240:241], s[30:31]
	v_fma_f64 v[40:41], s[16:17], v[228:229], v[38:39]
	v_add_f64 v[44:45], v[44:45], v[48:49]
	v_mul_f64 v[56:57], v[222:223], s[18:19]
	v_fma_f64 v[62:63], v[212:213], s[42:43], -v[60:61]
	v_add_f64 v[0:1], v[36:37], v[0:1]
	v_mul_f64 v[30:31], v[248:249], s[36:37]
	v_fma_f64 v[36:37], s[28:29], v[236:237], v[34:35]
	v_add_f64 v[40:41], v[40:41], v[44:45]
	v_mul_f64 v[54:55], v[230:231], s[24:25]
	v_fma_f64 v[58:59], v[220:221], s[0:1], -v[56:57]
	v_add_f64 v[62:63], v[112:113], v[62:63]
	v_fmac_f64_e32 v[10:11], s[0:1], v[14:15]
	v_mul_f64 v[8:9], v[12:13], s[46:47]
	v_fma_f64 v[32:33], s[20:21], v[244:245], v[30:31]
	v_add_f64 v[36:37], v[36:37], v[40:41]
	v_mul_f64 v[50:51], v[238:239], s[30:31]
	v_fma_f64 v[200:201], v[226:227], s[16:17], -v[54:55]
	v_add_f64 v[58:59], v[58:59], v[62:63]
	v_fmac_f64_e32 v[2:3], s[20:21], v[22:23]
	v_add_f64 v[0:1], v[10:11], v[0:1]
	v_mul_f64 v[4:5], v[20:21], s[48:49]
	v_fma_f64 v[10:11], s[6:7], v[250:251], v[8:9]
	v_add_f64 v[32:33], v[32:33], v[36:37]
	v_mul_f64 v[44:45], v[246:247], s[36:37]
	v_fma_f64 v[52:53], v[234:235], s[28:29], -v[50:51]
	v_add_f64 v[58:59], v[200:201], v[58:59]
	v_add_f64 v[204:205], v[2:3], v[0:1]
	v_mul_f64 v[0:1], v[28:29], s[52:53]
	v_fma_f64 v[6:7], s[34:35], v[16:17], v[4:5]
	v_add_f64 v[10:11], v[10:11], v[32:33]
	v_mul_f64 v[36:37], v[254:255], s[46:47]
	v_fma_f64 v[48:49], v[242:243], s[20:21], -v[44:45]
	v_add_f64 v[52:53], v[52:53], v[58:59]
	v_fma_f64 v[2:3], s[38:39], v[24:25], v[0:1]
	v_add_f64 v[6:7], v[6:7], v[10:11]
	v_mul_f64 v[10:11], v[18:19], s[48:49]
	v_fma_f64 v[40:41], v[252:253], s[6:7], -v[36:37]
	v_add_f64 v[48:49], v[48:49], v[52:53]
	v_add_f64 v[202:203], v[2:3], v[6:7]
	v_mul_f64 v[6:7], v[26:27], s[52:53]
	v_fma_f64 v[32:33], v[14:15], s[34:35], -v[10:11]
	v_add_f64 v[40:41], v[40:41], v[48:49]
	v_fma_f64 v[2:3], v[22:23], s[38:39], -v[6:7]
	v_add_f64 v[32:33], v[32:33], v[40:41]
	v_add_f64 v[200:201], v[2:3], v[32:33]
	v_fma_f64 v[32:33], v[228:229], s[16:17], -v[38:39]
	v_fma_f64 v[38:39], v[214:215], s[42:43], -v[46:47]
	;; [unrolled: 1-line block ×7, first 2 shown]
	v_add_f64 v[38:39], v[114:115], v[38:39]
	v_add_f64 v[34:35], v[34:35], v[38:39]
	;; [unrolled: 1-line block ×6, first 2 shown]
	v_fma_f64 v[0:1], v[24:25], s[38:39], -v[0:1]
	v_add_f64 v[2:3], v[2:3], v[4:5]
	v_fmac_f64_e32 v[60:61], s[42:43], v[212:213]
	v_add_f64 v[2:3], v[0:1], v[2:3]
	v_fmac_f64_e32 v[56:57], s[0:1], v[220:221]
	;; [unrolled: 2-line block ×5, first 2 shown]
	v_add_f64 v[0:1], v[50:51], v[0:1]
	v_add_f64 v[0:1], v[44:45], v[0:1]
	v_mul_f64 v[44:45], v[218:219], s[44:45]
	v_fmac_f64_e32 v[36:37], s[6:7], v[252:253]
	v_mul_f64 v[40:41], v[224:225], s[54:55]
	v_fma_f64 v[46:47], s[38:39], v[214:215], v[44:45]
	v_add_f64 v[0:1], v[36:37], v[0:1]
	v_mul_f64 v[36:37], v[232:233], s[40:41]
	v_fma_f64 v[42:43], s[42:43], v[210:211], v[40:41]
	v_add_f64 v[46:47], v[114:115], v[46:47]
	v_mul_f64 v[58:59], v[216:217], s[44:45]
	v_mul_f64 v[32:33], v[240:241], s[18:19]
	v_fma_f64 v[38:39], s[34:35], v[228:229], v[36:37]
	v_add_f64 v[42:43], v[42:43], v[46:47]
	v_mul_f64 v[54:55], v[222:223], s[54:55]
	v_fma_f64 v[60:61], v[212:213], s[38:39], -v[58:59]
	v_mul_f64 v[8:9], v[28:29], s[30:31]
	v_mul_f64 v[28:29], v[248:249], s[22:23]
	v_fma_f64 v[34:35], s[0:1], v[236:237], v[32:33]
	v_add_f64 v[38:39], v[38:39], v[42:43]
	v_mul_f64 v[50:51], v[230:231], s[40:41]
	v_fma_f64 v[56:57], v[220:221], s[42:43], -v[54:55]
	v_add_f64 v[60:61], v[112:113], v[60:61]
	v_fmac_f64_e32 v[10:11], s[34:35], v[14:15]
	v_mul_f64 v[12:13], v[12:13], s[24:25]
	v_fma_f64 v[30:31], s[6:7], v[244:245], v[28:29]
	v_add_f64 v[34:35], v[34:35], v[38:39]
	v_mul_f64 v[46:47], v[238:239], s[18:19]
	v_fma_f64 v[52:53], v[226:227], s[34:35], -v[50:51]
	v_add_f64 v[56:57], v[56:57], v[60:61]
	v_add_f64 v[0:1], v[10:11], v[0:1]
	v_mul_f64 v[10:11], v[20:21], s[26:27]
	v_fma_f64 v[20:21], s[16:17], v[250:251], v[12:13]
	v_add_f64 v[30:31], v[30:31], v[34:35]
	v_mul_f64 v[38:39], v[246:247], s[22:23]
	v_fma_f64 v[48:49], v[234:235], s[0:1], -v[46:47]
	v_add_f64 v[52:53], v[52:53], v[56:57]
	v_fmac_f64_e32 v[6:7], s[38:39], v[22:23]
	v_add_f64 v[20:21], v[20:21], v[30:31]
	v_mul_f64 v[30:31], v[254:255], s[24:25]
	v_fma_f64 v[42:43], v[242:243], s[6:7], -v[38:39]
	v_add_f64 v[48:49], v[48:49], v[52:53]
	v_add_f64 v[0:1], v[6:7], v[0:1]
	v_fma_f64 v[6:7], s[20:21], v[16:17], v[10:11]
	v_mul_f64 v[18:19], v[18:19], s[26:27]
	v_fma_f64 v[34:35], v[252:253], s[16:17], -v[30:31]
	v_add_f64 v[42:43], v[42:43], v[48:49]
	v_fma_f64 v[4:5], s[28:29], v[24:25], v[8:9]
	v_add_f64 v[6:7], v[6:7], v[20:21]
	v_mul_f64 v[20:21], v[26:27], s[30:31]
	v_fma_f64 v[26:27], v[14:15], s[20:21], -v[18:19]
	v_add_f64 v[34:35], v[34:35], v[42:43]
	v_fma_f64 v[8:9], v[24:25], s[28:29], -v[8:9]
	v_fma_f64 v[24:25], v[236:237], s[0:1], -v[32:33]
	;; [unrolled: 1-line block ×3, first 2 shown]
	v_add_f64 v[6:7], v[4:5], v[6:7]
	v_fma_f64 v[4:5], v[22:23], s[28:29], -v[20:21]
	v_add_f64 v[26:27], v[26:27], v[34:35]
	v_fma_f64 v[10:11], v[16:17], s[20:21], -v[10:11]
	v_fma_f64 v[16:17], v[244:245], s[6:7], -v[28:29]
	;; [unrolled: 1-line block ×3, first 2 shown]
	v_add_f64 v[32:33], v[114:115], v[32:33]
	v_add_f64 v[4:5], v[4:5], v[26:27]
	v_fma_f64 v[26:27], v[228:229], s[34:35], -v[36:37]
	v_add_f64 v[28:29], v[28:29], v[32:33]
	v_add_f64 v[26:27], v[26:27], v[28:29]
	;; [unrolled: 1-line block ×3, first 2 shown]
	v_fma_f64 v[12:13], v[250:251], s[16:17], -v[12:13]
	v_add_f64 v[16:17], v[16:17], v[24:25]
	v_add_f64 v[12:13], v[12:13], v[16:17]
	;; [unrolled: 1-line block ×3, first 2 shown]
	v_fmac_f64_e32 v[58:59], s[38:39], v[212:213]
	v_add_f64 v[16:17], v[8:9], v[10:11]
	v_fmac_f64_e32 v[54:55], s[42:43], v[220:221]
	v_add_f64 v[8:9], v[112:113], v[58:59]
	;; [unrolled: 2-line block ×8, first 2 shown]
	v_add_f64 v[14:15], v[20:21], v[8:9]
	v_add_f64 v[8:9], v[114:115], v[118:119]
	;; [unrolled: 1-line block ×32, first 2 shown]
	v_accvgpr_read_b32 v12, a96
	v_add_f64 v[8:9], v[8:9], v[64:65]
	v_lshlrev_b32_e32 v12, 4, v12
	v_accvgpr_read_b32 v63, a55
	v_accvgpr_read_b32 v51, a7
	v_accvgpr_read_b32 v75, a67
	v_accvgpr_read_b32 v71, a63
	v_accvgpr_read_b32 v67, a59
	ds_write_b128 v12, v[8:11]
	ds_write_b128 v12, v[14:17] offset:16
	ds_write_b128 v12, v[0:3] offset:32
	;; [unrolled: 1-line block ×3, first 2 shown]
	v_accvgpr_read_b32 v207, a23
	ds_write_b128 v12, v[196:199] offset:64
	ds_write_b128 v12, v[188:191] offset:80
	;; [unrolled: 1-line block ×12, first 2 shown]
	v_accvgpr_read_b32 v203, a19
	v_accvgpr_read_b32 v62, a54
	;; [unrolled: 1-line block ×19, first 2 shown]
	v_accvgpr_mov_b32 a56, a2
	v_accvgpr_read_b32 v193, a3
	v_accvgpr_read_b32 v202, a18
	;; [unrolled: 1-line block ×4, first 2 shown]
	ds_write_b128 v12, v[4:7] offset:256
.LBB0_17:
	s_or_b64 exec, exec, s[62:63]
	s_waitcnt lgkmcnt(0)
	s_barrier
	ds_read_b128 v[0:3], v208
	ds_read_b128 v[112:115], v208 offset:2992
	ds_read_b128 v[108:111], v208 offset:5984
	;; [unrolled: 1-line block ×6, first 2 shown]
	s_and_saveexec_b64 s[0:1], s[2:3]
	s_cbranch_execz .LBB0_19
; %bb.18:
	ds_read_b128 v[168:171], v208 offset:1904
	ds_read_b128 v[176:179], v208 offset:4896
	;; [unrolled: 1-line block ×7, first 2 shown]
.LBB0_19:
	s_or_b64 exec, exec, s[0:1]
	v_accvgpr_read_b32 v16, a40
	v_accvgpr_read_b32 v18, a42
	;; [unrolled: 1-line block ×5, first 2 shown]
	s_waitcnt lgkmcnt(5)
	v_mul_f64 v[12:13], v[18:19], v[114:115]
	v_mul_f64 v[14:15], v[18:19], v[112:113]
	v_accvgpr_read_b32 v22, a34
	v_accvgpr_read_b32 v23, a35
	;; [unrolled: 1-line block ×3, first 2 shown]
	v_fmac_f64_e32 v[12:13], v[16:17], v[112:113]
	v_fma_f64 v[14:15], v[16:17], v[114:115], -v[14:15]
	v_accvgpr_read_b32 v21, a33
	s_waitcnt lgkmcnt(4)
	v_mul_f64 v[16:17], v[22:23], v[110:111]
	v_mul_f64 v[18:19], v[22:23], v[108:109]
	v_accvgpr_read_b32 v26, a38
	v_accvgpr_read_b32 v27, a39
	;; [unrolled: 1-line block ×3, first 2 shown]
	v_fmac_f64_e32 v[16:17], v[20:21], v[108:109]
	v_fma_f64 v[18:19], v[20:21], v[110:111], -v[18:19]
	v_accvgpr_read_b32 v25, a37
	s_waitcnt lgkmcnt(3)
	v_mul_f64 v[20:21], v[26:27], v[106:107]
	v_mul_f64 v[22:23], v[26:27], v[104:105]
	v_accvgpr_read_b32 v30, a30
	v_accvgpr_read_b32 v31, a31
	v_fmac_f64_e32 v[20:21], v[24:25], v[104:105]
	v_fma_f64 v[22:23], v[24:25], v[106:107], -v[22:23]
	s_waitcnt lgkmcnt(2)
	v_mul_f64 v[24:25], v[30:31], v[102:103]
	v_mul_f64 v[26:27], v[30:31], v[100:101]
	v_accvgpr_read_b32 v30, a48
	v_accvgpr_read_b32 v29, a29
	;; [unrolled: 1-line block ×4, first 2 shown]
	v_fmac_f64_e32 v[24:25], v[28:29], v[100:101]
	v_fma_f64 v[26:27], v[28:29], v[102:103], -v[26:27]
	v_accvgpr_read_b32 v31, a49
	s_waitcnt lgkmcnt(1)
	v_mul_f64 v[28:29], v[32:33], v[10:11]
	v_fmac_f64_e32 v[28:29], v[30:31], v[8:9]
	v_mul_f64 v[8:9], v[32:33], v[8:9]
	v_fma_f64 v[8:9], v[30:31], v[10:11], -v[8:9]
	v_accvgpr_read_b32 v30, a44
	v_accvgpr_read_b32 v32, a46
	;; [unrolled: 1-line block ×4, first 2 shown]
	s_waitcnt lgkmcnt(0)
	v_mul_f64 v[10:11], v[32:33], v[6:7]
	v_fmac_f64_e32 v[10:11], v[30:31], v[4:5]
	v_mul_f64 v[4:5], v[32:33], v[4:5]
	v_fma_f64 v[4:5], v[30:31], v[6:7], -v[4:5]
	v_add_f64 v[6:7], v[12:13], v[10:11]
	v_add_f64 v[10:11], v[12:13], -v[10:11]
	v_add_f64 v[12:13], v[16:17], v[28:29]
	v_add_f64 v[30:31], v[14:15], v[4:5]
	v_add_f64 v[4:5], v[14:15], -v[4:5]
	v_add_f64 v[14:15], v[18:19], v[8:9]
	v_add_f64 v[8:9], v[18:19], -v[8:9]
	;; [unrolled: 2-line block ×6, first 2 shown]
	v_add_f64 v[6:7], v[6:7], -v[18:19]
	v_add_f64 v[12:13], v[18:19], -v[12:13]
	v_add_f64 v[18:19], v[18:19], v[24:25]
	v_add_f64 v[24:25], v[28:29], v[26:27]
	;; [unrolled: 1-line block ×3, first 2 shown]
	s_mov_b32 s16, 0x37e14327
	s_mov_b32 s18, 0x36b3c0b5
	;; [unrolled: 1-line block ×5, first 2 shown]
	v_add_f64 v[34:35], v[14:15], -v[30:31]
	v_add_f64 v[30:31], v[30:31], -v[28:29]
	;; [unrolled: 1-line block ×3, first 2 shown]
	v_add_f64 v[36:37], v[20:21], v[16:17]
	v_add_f64 v[38:39], v[22:23], v[8:9]
	v_add_f64 v[40:41], v[20:21], -v[16:17]
	v_add_f64 v[42:43], v[22:23], -v[8:9]
	;; [unrolled: 1-line block ×4, first 2 shown]
	v_add_f64 v[2:3], v[2:3], v[24:25]
	s_mov_b32 s17, 0x3fe948f6
	s_mov_b32 s19, 0x3fac98ee
	;; [unrolled: 1-line block ×5, first 2 shown]
	v_mov_b64_e32 v[44:45], v[0:1]
	s_mov_b32 s6, 0x5476071b
	s_mov_b32 s30, 0xb247c609
	v_add_f64 v[20:21], v[10:11], -v[20:21]
	v_add_f64 v[22:23], v[4:5], -v[22:23]
	v_add_f64 v[10:11], v[36:37], v[10:11]
	v_add_f64 v[4:5], v[38:39], v[4:5]
	v_mul_f64 v[6:7], v[6:7], s[16:17]
	v_mul_f64 v[26:27], v[30:31], s[16:17]
	v_mul_f64 v[28:29], v[12:13], s[18:19]
	v_mul_f64 v[30:31], v[14:15], s[18:19]
	v_mul_f64 v[36:37], v[40:41], s[20:21]
	v_mul_f64 v[38:39], v[42:43], s[20:21]
	v_mul_f64 v[40:41], v[16:17], s[0:1]
	v_mul_f64 v[42:43], v[8:9], s[0:1]
	v_fmac_f64_e32 v[44:45], s[28:29], v[18:19]
	v_mov_b64_e32 v[18:19], v[2:3]
	s_mov_b32 s7, 0x3fe77f67
	s_mov_b32 s23, 0xbfe77f67
	;; [unrolled: 1-line block ×7, first 2 shown]
	v_fmac_f64_e32 v[18:19], s[28:29], v[24:25]
	v_fma_f64 v[24:25], v[32:33], s[6:7], -v[28:29]
	v_fma_f64 v[28:29], v[34:35], s[6:7], -v[30:31]
	;; [unrolled: 1-line block ×3, first 2 shown]
	v_fmac_f64_e32 v[6:7], s[18:19], v[12:13]
	v_fma_f64 v[12:13], v[34:35], s[22:23], -v[26:27]
	v_fmac_f64_e32 v[26:27], s[18:19], v[14:15]
	v_fma_f64 v[32:33], v[16:17], s[0:1], -v[36:37]
	;; [unrolled: 2-line block ×4, first 2 shown]
	v_fma_f64 v[20:21], v[22:23], s[26:27], -v[42:43]
	s_mov_b32 s25, 0xbfdc38aa
	v_add_f64 v[40:41], v[6:7], v[44:45]
	v_add_f64 v[26:27], v[26:27], v[18:19]
	;; [unrolled: 1-line block ×6, first 2 shown]
	v_fmac_f64_e32 v[36:37], s[24:25], v[10:11]
	v_fmac_f64_e32 v[38:39], s[24:25], v[4:5]
	v_fmac_f64_e32 v[32:33], s[24:25], v[10:11]
	v_fmac_f64_e32 v[16:17], s[24:25], v[4:5]
	v_fmac_f64_e32 v[34:35], s[24:25], v[10:11]
	v_fmac_f64_e32 v[20:21], s[24:25], v[4:5]
	v_add_f64 v[4:5], v[38:39], v[40:41]
	v_add_f64 v[6:7], v[26:27], -v[36:37]
	v_add_f64 v[8:9], v[20:21], v[28:29]
	v_add_f64 v[10:11], v[30:31], -v[34:35]
	v_add_f64 v[12:13], v[22:23], -v[16:17]
	v_add_f64 v[14:15], v[32:33], v[24:25]
	v_add_f64 v[16:17], v[16:17], v[22:23]
	v_add_f64 v[18:19], v[24:25], -v[32:33]
	v_add_f64 v[20:21], v[28:29], -v[20:21]
	v_add_f64 v[22:23], v[34:35], v[30:31]
	v_add_f64 v[24:25], v[40:41], -v[38:39]
	v_add_f64 v[26:27], v[36:37], v[26:27]
	s_barrier
	ds_write_b128 v193, v[0:3]
	ds_write_b128 v193, v[4:7] offset:272
	ds_write_b128 v193, v[8:11] offset:544
	;; [unrolled: 1-line block ×6, first 2 shown]
	s_and_saveexec_b64 s[34:35], s[2:3]
	s_cbranch_execz .LBB0_21
; %bb.20:
	v_accvgpr_read_b32 v31, a27
	v_accvgpr_read_b32 v40, a74
	;; [unrolled: 1-line block ×8, first 2 shown]
	v_mul_f64 v[0:1], v[202:203], v[178:179]
	v_accvgpr_read_b32 v29, a25
	v_accvgpr_read_b32 v28, a24
	v_mul_f64 v[4:5], v[30:31], v[166:167]
	v_mul_f64 v[10:11], v[50:51], v[158:159]
	v_accvgpr_read_b32 v41, a75
	v_mul_f64 v[12:13], v[42:43], v[174:175]
	v_accvgpr_read_b32 v37, a71
	v_mul_f64 v[16:17], v[38:39], v[182:183]
	v_mul_f64 v[18:19], v[206:207], v[162:163]
	v_fmac_f64_e32 v[0:1], v[200:201], v[176:177]
	v_fmac_f64_e32 v[4:5], v[28:29], v[164:165]
	;; [unrolled: 1-line block ×6, first 2 shown]
	v_add_f64 v[8:9], v[0:1], -v[4:5]
	v_add_f64 v[2:3], v[10:11], -v[12:13]
	;; [unrolled: 1-line block ×5, first 2 shown]
	v_add_f64 v[2:3], v[2:3], v[20:21]
	v_add_f64 v[26:27], v[2:3], v[8:9]
	v_mul_f64 v[2:3], v[30:31], v[164:165]
	v_fma_f64 v[28:29], v[28:29], v[166:167], -v[2:3]
	v_mul_f64 v[2:3], v[202:203], v[176:177]
	v_fma_f64 v[30:31], v[200:201], v[178:179], -v[2:3]
	v_mul_f64 v[2:3], v[206:207], v[160:161]
	v_mul_f64 v[22:23], v[6:7], s[20:21]
	v_fma_f64 v[34:35], v[204:205], v[162:163], -v[2:3]
	v_mul_f64 v[2:3], v[38:39], v[180:181]
	v_mul_f64 v[6:7], v[42:43], v[172:173]
	v_fma_f64 v[36:37], v[36:37], v[182:183], -v[2:3]
	v_fma_f64 v[40:41], v[40:41], v[174:175], -v[6:7]
	v_mul_f64 v[6:7], v[50:51], v[156:157]
	v_add_f64 v[32:33], v[30:31], v[28:29]
	v_add_f64 v[38:39], v[36:37], v[34:35]
	v_fma_f64 v[42:43], v[48:49], v[158:159], -v[6:7]
	v_add_f64 v[52:53], v[0:1], v[4:5]
	v_add_f64 v[16:17], v[16:17], v[18:19]
	;; [unrolled: 1-line block ×10, first 2 shown]
	v_mov_b64_e32 v[46:47], v[2:3]
	v_mov_b64_e32 v[12:13], v[0:1]
	v_add_f64 v[20:21], v[20:21], -v[8:9]
	v_fmac_f64_e32 v[46:47], s[28:29], v[44:45]
	v_add_f64 v[44:45], v[32:33], -v[6:7]
	v_fmac_f64_e32 v[12:13], s[28:29], v[10:11]
	v_add_f64 v[10:11], v[52:53], -v[4:5]
	v_mul_f64 v[8:9], v[20:21], s[0:1]
	v_fma_f64 v[24:25], s[30:31], v[14:15], v[22:23]
	v_mul_f64 v[44:45], v[44:45], s[16:17]
	v_mul_f64 v[18:19], v[10:11], s[16:17]
	v_add_f64 v[4:5], v[4:5], -v[16:17]
	v_fma_f64 v[58:59], v[14:15], s[26:27], -v[8:9]
	v_add_f64 v[14:15], v[38:39], -v[32:33]
	v_mul_f64 v[54:55], v[4:5], s[18:19]
	v_fma_f64 v[4:5], s[18:19], v[4:5], v[18:19]
	v_add_f64 v[28:29], v[30:31], -v[28:29]
	v_add_f64 v[34:35], v[36:37], -v[34:35]
	v_fma_f64 v[8:9], v[14:15], s[22:23], -v[44:45]
	v_add_f64 v[16:17], v[16:17], -v[52:53]
	v_add_f64 v[6:7], v[6:7], -v[38:39]
	v_add_f64 v[56:57], v[4:5], v[12:13]
	v_add_f64 v[4:5], v[42:43], -v[40:41]
	v_add_f64 v[32:33], v[8:9], v[46:47]
	v_fma_f64 v[8:9], v[16:17], s[22:23], -v[18:19]
	v_add_f64 v[18:19], v[34:35], -v[28:29]
	v_mul_f64 v[48:49], v[6:7], s[18:19]
	v_add_f64 v[30:31], v[28:29], -v[4:5]
	v_add_f64 v[10:11], v[4:5], -v[34:35]
	v_add_f64 v[4:5], v[4:5], v[34:35]
	v_add_f64 v[38:39], v[8:9], v[12:13]
	v_mul_f64 v[8:9], v[18:19], s[0:1]
	v_mul_f64 v[36:37], v[10:11], s[20:21]
	v_add_f64 v[42:43], v[4:5], v[28:29]
	v_fma_f64 v[28:29], v[30:31], s[26:27], -v[8:9]
	v_fma_f64 v[14:15], v[14:15], s[6:7], -v[48:49]
	;; [unrolled: 1-line block ×3, first 2 shown]
	v_fma_f64 v[40:41], s[30:31], v[30:31], v[36:37]
	v_fmac_f64_e32 v[28:29], s[24:25], v[42:43]
	v_add_f64 v[30:31], v[14:15], v[46:47]
	v_fmac_f64_e32 v[20:21], s[24:25], v[26:27]
	v_add_f64 v[8:9], v[38:39], -v[28:29]
	v_add_f64 v[14:15], v[30:31], -v[20:21]
	v_fma_f64 v[22:23], v[18:19], s[0:1], -v[36:37]
	v_add_f64 v[18:19], v[20:21], v[30:31]
	v_add_f64 v[20:21], v[28:29], v[38:39]
	v_accvgpr_read_b32 v28, a1
	v_fma_f64 v[6:7], s[18:19], v[6:7], v[44:45]
	v_fma_f64 v[16:17], v[16:17], s[6:7], -v[54:55]
	v_mul_u32_u24_e32 v28, 0x77, v28
	v_accvgpr_read_b32 v29, a56
	v_fmac_f64_e32 v[24:25], s[24:25], v[26:27]
	v_add_f64 v[50:51], v[6:7], v[46:47]
	v_fmac_f64_e32 v[40:41], s[24:25], v[42:43]
	v_fmac_f64_e32 v[58:59], s[24:25], v[26:27]
	v_add_f64 v[16:17], v[16:17], v[12:13]
	v_fmac_f64_e32 v[22:23], s[24:25], v[42:43]
	v_add_lshl_u32 v28, v28, v29, 4
	v_add_f64 v[6:7], v[24:25], v[50:51]
	v_add_f64 v[4:5], v[56:57], -v[40:41]
	v_add_f64 v[10:11], v[58:59], v[32:33]
	v_add_f64 v[12:13], v[22:23], v[16:17]
	v_add_f64 v[16:17], v[16:17], -v[22:23]
	v_add_f64 v[22:23], v[32:33], -v[58:59]
	;; [unrolled: 1-line block ×3, first 2 shown]
	v_add_f64 v[24:25], v[40:41], v[56:57]
	ds_write_b128 v28, v[0:3]
	ds_write_b128 v28, v[24:27] offset:272
	ds_write_b128 v28, v[20:23] offset:544
	;; [unrolled: 1-line block ×6, first 2 shown]
.LBB0_21:
	s_or_b64 exec, exec, s[34:35]
	s_waitcnt lgkmcnt(0)
	s_barrier
	ds_read_b128 v[4:7], v208
	ds_read_b128 v[0:3], v208 offset:1904
	ds_read_b128 v[8:11], v208 offset:3808
	;; [unrolled: 1-line block ×10, first 2 shown]
	s_waitcnt lgkmcnt(9)
	v_mul_f64 v[46:47], v[74:75], v[2:3]
	v_fmac_f64_e32 v[46:47], v[72:73], v[0:1]
	v_mul_f64 v[0:1], v[74:75], v[0:1]
	v_fma_f64 v[48:49], v[72:73], v[2:3], -v[0:1]
	s_waitcnt lgkmcnt(8)
	v_mul_f64 v[0:1], v[70:71], v[8:9]
	v_fma_f64 v[52:53], v[68:69], v[10:11], -v[0:1]
	s_waitcnt lgkmcnt(7)
	;; [unrolled: 3-line block ×3, first 2 shown]
	v_mul_f64 v[16:17], v[62:63], v[20:21]
	v_mul_f64 v[0:1], v[62:63], v[18:19]
	v_fmac_f64_e32 v[16:17], v[60:61], v[18:19]
	v_fma_f64 v[18:19], v[60:61], v[20:21], -v[0:1]
	s_waitcnt lgkmcnt(5)
	v_mul_f64 v[0:1], v[90:91], v[22:23]
	v_mul_f64 v[50:51], v[70:71], v[10:11]
	v_fma_f64 v[10:11], v[88:89], v[24:25], -v[0:1]
	s_waitcnt lgkmcnt(4)
	v_mul_f64 v[0:1], v[86:87], v[26:27]
	v_fmac_f64_e32 v[50:51], v[68:69], v[8:9]
	v_mul_f64 v[54:55], v[66:67], v[14:15]
	v_mul_f64 v[8:9], v[90:91], v[24:25]
	v_fma_f64 v[14:15], v[84:85], v[28:29], -v[0:1]
	s_waitcnt lgkmcnt(3)
	v_mul_f64 v[0:1], v[82:83], v[30:31]
	v_fmac_f64_e32 v[54:55], v[64:65], v[12:13]
	v_fmac_f64_e32 v[8:9], v[88:89], v[22:23]
	v_mul_f64 v[12:13], v[86:87], v[28:29]
	v_fma_f64 v[22:23], v[80:81], v[32:33], -v[0:1]
	s_waitcnt lgkmcnt(2)
	v_mul_f64 v[0:1], v[78:79], v[34:35]
	v_add_f64 v[2:3], v[6:7], v[48:49]
	v_fmac_f64_e32 v[12:13], v[84:85], v[26:27]
	v_mul_f64 v[20:21], v[82:83], v[32:33]
	v_fma_f64 v[26:27], v[76:77], v[36:37], -v[0:1]
	s_waitcnt lgkmcnt(1)
	v_mul_f64 v[0:1], v[98:99], v[38:39]
	v_add_f64 v[2:3], v[2:3], v[52:53]
	;; [unrolled: 6-line block ×3, first 2 shown]
	v_fmac_f64_e32 v[24:25], v[76:77], v[34:35]
	v_fma_f64 v[34:35], v[92:93], v[44:45], -v[0:1]
	v_add_f64 v[0:1], v[4:5], v[46:47]
	v_add_f64 v[2:3], v[2:3], v[18:19]
	;; [unrolled: 1-line block ×10, first 2 shown]
	v_mul_f64 v[28:29], v[98:99], v[40:41]
	v_mul_f64 v[32:33], v[94:95], v[44:45]
	v_add_f64 v[0:1], v[0:1], v[12:13]
	v_add_f64 v[2:3], v[2:3], v[30:31]
	s_mov_b32 s20, 0xf8bb580b
	s_mov_b32 s2, 0x8eee2c13
	;; [unrolled: 1-line block ×5, first 2 shown]
	v_fmac_f64_e32 v[28:29], v[96:97], v[38:39]
	v_fmac_f64_e32 v[32:33], v[92:93], v[42:43]
	v_add_f64 v[0:1], v[0:1], v[20:21]
	v_add_f64 v[2:3], v[2:3], v[34:35]
	;; [unrolled: 1-line block ×3, first 2 shown]
	v_add_f64 v[34:35], v[48:49], -v[34:35]
	s_mov_b32 s21, 0xbfe14ced
	s_mov_b32 s22, 0x8764f0ba
	;; [unrolled: 1-line block ×10, first 2 shown]
	v_add_f64 v[0:1], v[0:1], v[24:25]
	v_add_f64 v[36:37], v[46:47], v[32:33]
	v_mul_f64 v[40:41], v[34:35], s[20:21]
	s_mov_b32 s23, 0x3feaeb8c
	v_mul_f64 v[48:49], v[34:35], s[2:3]
	s_mov_b32 s7, 0x3fda9628
	;; [unrolled: 2-line block ×5, first 2 shown]
	v_add_f64 v[0:1], v[0:1], v[28:29]
	v_fma_f64 v[42:43], s[22:23], v[36:37], v[40:41]
	v_fma_f64 v[40:41], v[36:37], s[22:23], -v[40:41]
	v_fma_f64 v[58:59], s[6:7], v[36:37], v[48:49]
	v_fma_f64 v[48:49], v[36:37], s[6:7], -v[48:49]
	;; [unrolled: 2-line block ×5, first 2 shown]
	v_add_f64 v[0:1], v[0:1], v[32:33]
	v_add_f64 v[32:33], v[46:47], -v[32:33]
	v_add_f64 v[42:43], v[4:5], v[42:43]
	v_mul_f64 v[44:45], v[38:39], s[22:23]
	s_mov_b32 s25, 0x3fe14ced
	s_mov_b32 s24, s20
	v_add_f64 v[40:41], v[4:5], v[40:41]
	v_add_f64 v[58:59], v[4:5], v[58:59]
	v_mul_f64 v[60:61], v[38:39], s[6:7]
	s_mov_b32 s17, 0x3fed1bb4
	s_mov_b32 s16, s2
	v_add_f64 v[48:49], v[4:5], v[48:49]
	;; [unrolled: 5-line block ×5, first 2 shown]
	v_add_f64 v[34:35], v[52:53], v[30:31]
	v_add_f64 v[30:31], v[52:53], -v[30:31]
	v_fma_f64 v[46:47], s[24:25], v[32:33], v[44:45]
	v_fmac_f64_e32 v[44:45], s[20:21], v[32:33]
	v_fma_f64 v[62:63], s[16:17], v[32:33], v[60:61]
	v_fmac_f64_e32 v[60:61], s[2:3], v[32:33]
	;; [unrolled: 2-line block ×5, first 2 shown]
	v_add_f64 v[32:33], v[50:51], v[28:29]
	v_mul_f64 v[36:37], v[30:31], s[2:3]
	v_add_f64 v[46:47], v[6:7], v[46:47]
	v_add_f64 v[44:45], v[6:7], v[44:45]
	;; [unrolled: 1-line block ×10, first 2 shown]
	v_fma_f64 v[38:39], s[6:7], v[32:33], v[36:37]
	v_add_f64 v[28:29], v[50:51], -v[28:29]
	v_add_f64 v[38:39], v[38:39], v[42:43]
	v_mul_f64 v[42:43], v[34:35], s[6:7]
	v_fma_f64 v[50:51], s[16:17], v[28:29], v[42:43]
	v_fma_f64 v[36:37], v[32:33], s[6:7], -v[36:37]
	v_fmac_f64_e32 v[42:43], s[2:3], v[28:29]
	v_add_f64 v[46:47], v[50:51], v[46:47]
	v_add_f64 v[36:37], v[36:37], v[40:41]
	;; [unrolled: 1-line block ×3, first 2 shown]
	v_mul_f64 v[42:43], v[30:31], s[28:29]
	v_mul_f64 v[50:51], v[34:35], s[30:31]
	v_fma_f64 v[44:45], s[30:31], v[32:33], v[42:43]
	v_fma_f64 v[52:53], s[34:35], v[28:29], v[50:51]
	v_fma_f64 v[42:43], v[32:33], s[30:31], -v[42:43]
	v_fmac_f64_e32 v[50:51], s[28:29], v[28:29]
	v_add_f64 v[42:43], v[42:43], v[48:49]
	v_add_f64 v[48:49], v[50:51], v[60:61]
	v_mul_f64 v[50:51], v[30:31], s[40:41]
	v_add_f64 v[44:45], v[44:45], v[58:59]
	v_fma_f64 v[58:59], s[38:39], v[32:33], v[50:51]
	v_fma_f64 v[50:51], v[32:33], s[38:39], -v[50:51]
	v_add_f64 v[50:51], v[50:51], v[64:65]
	v_mul_f64 v[64:65], v[30:31], s[26:27]
	v_add_f64 v[58:59], v[58:59], v[66:67]
	v_mul_f64 v[60:61], v[34:35], s[38:39]
	v_fma_f64 v[66:67], s[18:19], v[32:33], v[64:65]
	v_fma_f64 v[64:65], v[32:33], s[18:19], -v[64:65]
	v_mul_f64 v[30:31], v[30:31], s[24:25]
	v_add_f64 v[52:53], v[52:53], v[62:63]
	v_fma_f64 v[62:63], s[36:37], v[28:29], v[60:61]
	v_fmac_f64_e32 v[60:61], s[40:41], v[28:29]
	v_add_f64 v[64:65], v[64:65], v[72:73]
	v_fma_f64 v[72:73], s[22:23], v[32:33], v[30:31]
	v_fma_f64 v[30:31], v[32:33], s[22:23], -v[30:31]
	v_add_f64 v[60:61], v[60:61], v[68:69]
	v_mul_f64 v[68:69], v[34:35], s[18:19]
	v_mul_f64 v[34:35], v[34:35], s[22:23]
	v_add_f64 v[4:5], v[30:31], v[4:5]
	v_add_f64 v[30:31], v[56:57], v[26:27]
	v_add_f64 v[26:27], v[56:57], -v[26:27]
	v_add_f64 v[62:63], v[62:63], v[70:71]
	v_add_f64 v[66:67], v[66:67], v[74:75]
	v_fma_f64 v[70:71], s[0:1], v[28:29], v[68:69]
	v_fmac_f64_e32 v[68:69], s[26:27], v[28:29]
	v_fma_f64 v[74:75], s[20:21], v[28:29], v[34:35]
	v_fmac_f64_e32 v[34:35], s[24:25], v[28:29]
	v_add_f64 v[28:29], v[54:55], v[24:25]
	v_mul_f64 v[32:33], v[26:27], s[0:1]
	v_add_f64 v[6:7], v[34:35], v[6:7]
	v_fma_f64 v[34:35], s[18:19], v[28:29], v[32:33]
	v_add_f64 v[24:25], v[54:55], -v[24:25]
	v_add_f64 v[34:35], v[34:35], v[38:39]
	v_mul_f64 v[38:39], v[30:31], s[18:19]
	v_fma_f64 v[54:55], s[26:27], v[24:25], v[38:39]
	v_fma_f64 v[32:33], v[28:29], s[18:19], -v[32:33]
	v_fmac_f64_e32 v[38:39], s[0:1], v[24:25]
	v_add_f64 v[32:33], v[32:33], v[36:37]
	v_add_f64 v[36:37], v[38:39], v[40:41]
	v_mul_f64 v[38:39], v[26:27], s[40:41]
	v_fma_f64 v[40:41], s[38:39], v[28:29], v[38:39]
	v_add_f64 v[40:41], v[40:41], v[44:45]
	v_mul_f64 v[44:45], v[30:31], s[38:39]
	v_add_f64 v[46:47], v[54:55], v[46:47]
	v_fma_f64 v[54:55], s[36:37], v[24:25], v[44:45]
	v_fma_f64 v[38:39], v[28:29], s[38:39], -v[38:39]
	v_fmac_f64_e32 v[44:45], s[40:41], v[24:25]
	v_add_f64 v[52:53], v[54:55], v[52:53]
	v_add_f64 v[38:39], v[38:39], v[42:43]
	;; [unrolled: 1-line block ×3, first 2 shown]
	v_mul_f64 v[44:45], v[26:27], s[16:17]
	v_mul_f64 v[54:55], v[30:31], s[6:7]
	v_fma_f64 v[48:49], s[6:7], v[28:29], v[44:45]
	v_fma_f64 v[56:57], s[2:3], v[24:25], v[54:55]
	v_fma_f64 v[44:45], v[28:29], s[6:7], -v[44:45]
	v_fmac_f64_e32 v[54:55], s[16:17], v[24:25]
	v_add_f64 v[44:45], v[44:45], v[50:51]
	v_add_f64 v[50:51], v[54:55], v[60:61]
	v_mul_f64 v[54:55], v[26:27], s[20:21]
	v_add_f64 v[48:49], v[48:49], v[58:59]
	v_fma_f64 v[58:59], s[22:23], v[28:29], v[54:55]
	v_fma_f64 v[54:55], v[28:29], s[22:23], -v[54:55]
	v_mul_f64 v[26:27], v[26:27], s[28:29]
	v_add_f64 v[54:55], v[54:55], v[64:65]
	v_fma_f64 v[64:65], s[30:31], v[28:29], v[26:27]
	v_fma_f64 v[26:27], v[28:29], s[30:31], -v[26:27]
	v_mul_f64 v[60:61], v[30:31], s[22:23]
	v_mul_f64 v[30:31], v[30:31], s[30:31]
	v_add_f64 v[4:5], v[26:27], v[4:5]
	v_add_f64 v[26:27], v[18:19], v[22:23]
	v_add_f64 v[18:19], v[18:19], -v[22:23]
	v_add_f64 v[56:57], v[56:57], v[62:63]
	v_add_f64 v[58:59], v[58:59], v[66:67]
	v_fma_f64 v[62:63], s[24:25], v[24:25], v[60:61]
	v_fmac_f64_e32 v[60:61], s[20:21], v[24:25]
	v_fma_f64 v[66:67], s[34:35], v[24:25], v[30:31]
	v_fmac_f64_e32 v[30:31], s[28:29], v[24:25]
	v_add_f64 v[24:25], v[16:17], v[20:21]
	v_add_f64 v[16:17], v[16:17], -v[20:21]
	v_mul_f64 v[20:21], v[18:19], s[28:29]
	v_fma_f64 v[22:23], s[30:31], v[24:25], v[20:21]
	v_mul_f64 v[28:29], v[26:27], s[30:31]
	v_fma_f64 v[20:21], v[24:25], s[30:31], -v[20:21]
	v_add_f64 v[6:7], v[30:31], v[6:7]
	v_fma_f64 v[30:31], s[34:35], v[16:17], v[28:29]
	v_add_f64 v[20:21], v[20:21], v[32:33]
	v_fmac_f64_e32 v[28:29], s[28:29], v[16:17]
	v_mul_f64 v[32:33], v[18:19], s[26:27]
	v_add_f64 v[22:23], v[22:23], v[34:35]
	v_add_f64 v[28:29], v[28:29], v[36:37]
	v_fma_f64 v[34:35], s[18:19], v[24:25], v[32:33]
	v_mul_f64 v[36:37], v[26:27], s[18:19]
	v_fma_f64 v[32:33], v[24:25], s[18:19], -v[32:33]
	v_add_f64 v[34:35], v[34:35], v[40:41]
	v_fma_f64 v[40:41], s[0:1], v[16:17], v[36:37]
	v_add_f64 v[32:33], v[32:33], v[38:39]
	v_fmac_f64_e32 v[36:37], s[26:27], v[16:17]
	v_mul_f64 v[38:39], v[18:19], s[20:21]
	v_add_f64 v[30:31], v[30:31], v[46:47]
	v_add_f64 v[36:37], v[36:37], v[42:43]
	v_fma_f64 v[42:43], s[22:23], v[24:25], v[38:39]
	v_mul_f64 v[46:47], v[26:27], s[22:23]
	v_add_f64 v[42:43], v[42:43], v[48:49]
	v_fma_f64 v[48:49], s[24:25], v[16:17], v[46:47]
	v_fma_f64 v[38:39], v[24:25], s[22:23], -v[38:39]
	v_fmac_f64_e32 v[46:47], s[20:21], v[16:17]
	v_add_f64 v[38:39], v[38:39], v[44:45]
	v_add_f64 v[44:45], v[46:47], v[50:51]
	v_mul_f64 v[46:47], v[18:19], s[36:37]
	v_add_f64 v[70:71], v[70:71], v[78:79]
	v_add_f64 v[72:73], v[72:73], v[80:81]
	;; [unrolled: 1-line block ×4, first 2 shown]
	v_fma_f64 v[50:51], s[38:39], v[24:25], v[46:47]
	v_mul_f64 v[52:53], v[26:27], s[38:39]
	v_fma_f64 v[46:47], v[24:25], s[38:39], -v[46:47]
	v_mul_f64 v[18:19], v[18:19], s[16:17]
	v_mul_f64 v[26:27], v[26:27], s[6:7]
	v_add_f64 v[68:69], v[68:69], v[76:77]
	v_add_f64 v[62:63], v[62:63], v[70:71]
	;; [unrolled: 1-line block ×6, first 2 shown]
	v_fma_f64 v[54:55], s[6:7], v[24:25], v[18:19]
	v_fma_f64 v[58:59], s[2:3], v[16:17], v[26:27]
	v_add_f64 v[70:71], v[10:11], -v[14:15]
	v_add_f64 v[60:61], v[60:61], v[68:69]
	v_add_f64 v[48:49], v[48:49], v[56:57]
	v_fma_f64 v[56:57], s[40:41], v[16:17], v[52:53]
	v_fmac_f64_e32 v[52:53], s[36:37], v[16:17]
	v_add_f64 v[54:55], v[54:55], v[64:65]
	v_add_f64 v[58:59], v[58:59], v[66:67]
	v_fma_f64 v[18:19], v[24:25], s[6:7], -v[18:19]
	v_add_f64 v[64:65], v[8:9], v[12:13]
	v_add_f64 v[66:67], v[10:11], v[14:15]
	v_add_f64 v[68:69], v[8:9], -v[12:13]
	v_mul_f64 v[8:9], v[70:71], s[36:37]
	v_add_f64 v[52:53], v[52:53], v[60:61]
	v_add_f64 v[60:61], v[18:19], v[4:5]
	v_fmac_f64_e32 v[26:27], s[16:17], v[16:17]
	v_fma_f64 v[4:5], s[38:39], v[64:65], v[8:9]
	v_fma_f64 v[8:9], v[64:65], s[38:39], -v[8:9]
	v_mul_f64 v[16:17], v[70:71], s[24:25]
	v_mul_f64 v[18:19], v[66:67], s[22:23]
	;; [unrolled: 1-line block ×4, first 2 shown]
	v_add_f64 v[8:9], v[8:9], v[20:21]
	v_fma_f64 v[12:13], s[22:23], v[64:65], v[16:17]
	v_fma_f64 v[14:15], s[20:21], v[68:69], v[18:19]
	v_fma_f64 v[16:17], v[64:65], s[22:23], -v[16:17]
	v_fma_f64 v[20:21], s[30:31], v[64:65], v[24:25]
	v_add_f64 v[56:57], v[56:57], v[62:63]
	v_add_f64 v[62:63], v[26:27], v[6:7]
	v_fma_f64 v[6:7], s[40:41], v[68:69], v[10:11]
	v_fmac_f64_e32 v[10:11], s[36:37], v[68:69]
	v_add_f64 v[12:13], v[12:13], v[34:35]
	v_add_f64 v[14:15], v[14:15], v[40:41]
	;; [unrolled: 1-line block ×3, first 2 shown]
	v_fmac_f64_e32 v[18:19], s[24:25], v[68:69]
	v_add_f64 v[20:21], v[20:21], v[42:43]
	v_mul_f64 v[26:27], v[66:67], s[30:31]
	v_fma_f64 v[24:25], v[64:65], s[30:31], -v[24:25]
	v_mul_f64 v[32:33], v[70:71], s[16:17]
	v_mul_f64 v[34:35], v[66:67], s[6:7]
	;; [unrolled: 1-line block ×4, first 2 shown]
	v_add_f64 v[4:5], v[4:5], v[22:23]
	v_add_f64 v[6:7], v[6:7], v[30:31]
	;; [unrolled: 1-line block ×4, first 2 shown]
	v_fma_f64 v[22:23], s[34:35], v[68:69], v[26:27]
	v_add_f64 v[24:25], v[24:25], v[38:39]
	v_fmac_f64_e32 v[26:27], s[28:29], v[68:69]
	v_fma_f64 v[28:29], s[6:7], v[64:65], v[32:33]
	v_fma_f64 v[30:31], s[2:3], v[68:69], v[34:35]
	v_fma_f64 v[32:33], v[64:65], s[6:7], -v[32:33]
	v_fmac_f64_e32 v[34:35], s[16:17], v[68:69]
	v_fma_f64 v[36:37], s[18:19], v[64:65], v[40:41]
	v_fma_f64 v[38:39], s[26:27], v[68:69], v[42:43]
	v_fma_f64 v[40:41], v[64:65], s[18:19], -v[40:41]
	v_fmac_f64_e32 v[42:43], s[0:1], v[68:69]
	v_add_f64 v[22:23], v[22:23], v[48:49]
	v_add_f64 v[26:27], v[26:27], v[44:45]
	;; [unrolled: 1-line block ×10, first 2 shown]
	ds_write_b128 v208, v[0:3]
	ds_write_b128 v208, v[4:7] offset:1904
	ds_write_b128 v208, v[12:15] offset:3808
	;; [unrolled: 1-line block ×10, first 2 shown]
	s_waitcnt lgkmcnt(0)
	s_barrier
	s_and_b64 exec, exec, s[4:5]
	s_cbranch_execz .LBB0_23
; %bb.22:
	global_load_dwordx4 v[0:3], v208, s[12:13]
	v_accvgpr_read_b32 v26, a0
	v_mad_u64_u32 v[14:15], s[0:1], s10, v26, 0
	ds_read_b128 v[4:7], v208
	ds_read_b128 v[8:11], v208 offset:1232
	ds_read_b128 v[18:21], v208 offset:19712
	v_mov_b32_e32 v22, v15
	v_mad_u64_u32 v[16:17], s[2:3], s8, v209, 0
	v_mad_u64_u32 v[22:23], s[2:3], s11, v26, v[22:23]
	v_mov_b32_e32 v12, s14
	v_mov_b32_e32 v13, s15
	;; [unrolled: 1-line block ×4, first 2 shown]
	s_mov_b32 s0, 0xd336f476
	v_mad_u64_u32 v[24:25], s[2:3], s9, v209, v[24:25]
	v_lshl_add_u64 v[12:13], v[14:15], 4, v[12:13]
	s_mov_b32 s1, 0x3f490868
	v_mov_b32_e32 v17, v24
	v_lshl_add_u64 v[12:13], v[16:17], 4, v[12:13]
	v_mov_b32_e32 v24, 0x4d0
	s_mul_i32 s2, s9, 0x4d0
	v_mov_b32_e32 v209, 0
	s_movk_i32 s3, 0x1000
	s_waitcnt vmcnt(0) lgkmcnt(2)
	v_mul_f64 v[14:15], v[6:7], v[2:3]
	v_mul_f64 v[2:3], v[4:5], v[2:3]
	v_fmac_f64_e32 v[14:15], v[4:5], v[0:1]
	v_fma_f64 v[2:3], v[0:1], v[6:7], -v[2:3]
	v_mul_f64 v[0:1], v[14:15], s[0:1]
	v_mul_f64 v[2:3], v[2:3], s[0:1]
	global_store_dwordx4 v[12:13], v[0:3], off
	global_load_dwordx4 v[0:3], v208, s[12:13] offset:1232
	v_mad_u64_u32 v[12:13], s[4:5], s8, v24, v[12:13]
	v_add_u32_e32 v13, s2, v13
	s_waitcnt vmcnt(0) lgkmcnt(1)
	v_mul_f64 v[4:5], v[10:11], v[2:3]
	v_mul_f64 v[2:3], v[8:9], v[2:3]
	v_fmac_f64_e32 v[4:5], v[8:9], v[0:1]
	v_fma_f64 v[2:3], v[0:1], v[10:11], -v[2:3]
	v_mul_f64 v[0:1], v[4:5], s[0:1]
	v_mul_f64 v[2:3], v[2:3], s[0:1]
	global_store_dwordx4 v[12:13], v[0:3], off
	global_load_dwordx4 v[0:3], v208, s[12:13] offset:2464
	ds_read_b128 v[4:7], v208 offset:2464
	ds_read_b128 v[8:11], v208 offset:3696
	v_mad_u64_u32 v[12:13], s[4:5], s8, v24, v[12:13]
	v_add_u32_e32 v13, s2, v13
	s_waitcnt vmcnt(0) lgkmcnt(1)
	v_mul_f64 v[14:15], v[6:7], v[2:3]
	v_mul_f64 v[2:3], v[4:5], v[2:3]
	v_fmac_f64_e32 v[14:15], v[4:5], v[0:1]
	v_fma_f64 v[2:3], v[0:1], v[6:7], -v[2:3]
	v_mul_f64 v[0:1], v[14:15], s[0:1]
	v_mul_f64 v[2:3], v[2:3], s[0:1]
	global_store_dwordx4 v[12:13], v[0:3], off
	global_load_dwordx4 v[0:3], v208, s[12:13] offset:3696
	v_lshl_add_u64 v[14:15], s[12:13], 0, v[208:209]
	v_mad_u64_u32 v[12:13], s[4:5], s8, v24, v[12:13]
	v_add_co_u32_e32 v16, vcc, s3, v14
	v_add_u32_e32 v13, s2, v13
	s_nop 0
	v_addc_co_u32_e32 v17, vcc, 0, v15, vcc
	s_movk_i32 s3, 0x2000
	s_waitcnt vmcnt(0) lgkmcnt(0)
	v_mul_f64 v[4:5], v[10:11], v[2:3]
	v_mul_f64 v[2:3], v[8:9], v[2:3]
	v_fmac_f64_e32 v[4:5], v[8:9], v[0:1]
	v_fma_f64 v[2:3], v[0:1], v[10:11], -v[2:3]
	v_mul_f64 v[0:1], v[4:5], s[0:1]
	v_mul_f64 v[2:3], v[2:3], s[0:1]
	global_store_dwordx4 v[12:13], v[0:3], off
	global_load_dwordx4 v[0:3], v[16:17], off offset:832
	ds_read_b128 v[4:7], v208 offset:4928
	ds_read_b128 v[8:11], v208 offset:6160
	v_mad_u64_u32 v[12:13], s[4:5], s8, v24, v[12:13]
	v_add_u32_e32 v13, s2, v13
	s_waitcnt vmcnt(0) lgkmcnt(1)
	v_mul_f64 v[22:23], v[6:7], v[2:3]
	v_mul_f64 v[2:3], v[4:5], v[2:3]
	v_fmac_f64_e32 v[22:23], v[4:5], v[0:1]
	v_fma_f64 v[2:3], v[0:1], v[6:7], -v[2:3]
	v_mul_f64 v[0:1], v[22:23], s[0:1]
	v_mul_f64 v[2:3], v[2:3], s[0:1]
	global_store_dwordx4 v[12:13], v[0:3], off
	global_load_dwordx4 v[0:3], v[16:17], off offset:2064
	v_mad_u64_u32 v[12:13], s[4:5], s8, v24, v[12:13]
	v_add_u32_e32 v13, s2, v13
	s_waitcnt vmcnt(0) lgkmcnt(0)
	v_mul_f64 v[4:5], v[10:11], v[2:3]
	v_mul_f64 v[2:3], v[8:9], v[2:3]
	v_fmac_f64_e32 v[4:5], v[8:9], v[0:1]
	v_fma_f64 v[2:3], v[0:1], v[10:11], -v[2:3]
	v_mul_f64 v[0:1], v[4:5], s[0:1]
	v_mul_f64 v[2:3], v[2:3], s[0:1]
	global_store_dwordx4 v[12:13], v[0:3], off
	global_load_dwordx4 v[0:3], v[16:17], off offset:3296
	ds_read_b128 v[4:7], v208 offset:7392
	ds_read_b128 v[8:11], v208 offset:8624
	v_mad_u64_u32 v[12:13], s[4:5], s8, v24, v[12:13]
	v_add_co_u32_e32 v16, vcc, s3, v14
	v_add_u32_e32 v13, s2, v13
	s_nop 0
	v_addc_co_u32_e32 v17, vcc, 0, v15, vcc
	s_movk_i32 s3, 0x3000
	s_waitcnt vmcnt(0) lgkmcnt(1)
	v_mul_f64 v[22:23], v[6:7], v[2:3]
	v_mul_f64 v[2:3], v[4:5], v[2:3]
	v_fmac_f64_e32 v[22:23], v[4:5], v[0:1]
	v_fma_f64 v[2:3], v[0:1], v[6:7], -v[2:3]
	v_mul_f64 v[0:1], v[22:23], s[0:1]
	v_mul_f64 v[2:3], v[2:3], s[0:1]
	global_store_dwordx4 v[12:13], v[0:3], off
	global_load_dwordx4 v[0:3], v[16:17], off offset:432
	v_mad_u64_u32 v[12:13], s[4:5], s8, v24, v[12:13]
	v_add_u32_e32 v13, s2, v13
	s_waitcnt vmcnt(0) lgkmcnt(0)
	v_mul_f64 v[4:5], v[10:11], v[2:3]
	v_mul_f64 v[2:3], v[8:9], v[2:3]
	v_fmac_f64_e32 v[4:5], v[8:9], v[0:1]
	v_fma_f64 v[2:3], v[0:1], v[10:11], -v[2:3]
	v_mul_f64 v[0:1], v[4:5], s[0:1]
	v_mul_f64 v[2:3], v[2:3], s[0:1]
	global_store_dwordx4 v[12:13], v[0:3], off
	global_load_dwordx4 v[0:3], v[16:17], off offset:1664
	ds_read_b128 v[4:7], v208 offset:9856
	ds_read_b128 v[8:11], v208 offset:11088
	v_mad_u64_u32 v[12:13], s[4:5], s8, v24, v[12:13]
	v_add_u32_e32 v13, s2, v13
	s_waitcnt vmcnt(0) lgkmcnt(1)
	v_mul_f64 v[22:23], v[6:7], v[2:3]
	v_mul_f64 v[2:3], v[4:5], v[2:3]
	v_fmac_f64_e32 v[22:23], v[4:5], v[0:1]
	v_fma_f64 v[2:3], v[0:1], v[6:7], -v[2:3]
	v_mul_f64 v[0:1], v[22:23], s[0:1]
	v_mul_f64 v[2:3], v[2:3], s[0:1]
	global_store_dwordx4 v[12:13], v[0:3], off
	global_load_dwordx4 v[0:3], v[16:17], off offset:2896
	v_mad_u64_u32 v[12:13], s[4:5], s8, v24, v[12:13]
	v_add_co_u32_e32 v16, vcc, s3, v14
	v_add_u32_e32 v13, s2, v13
	s_nop 0
	v_addc_co_u32_e32 v17, vcc, 0, v15, vcc
	s_movk_i32 s3, 0x4000
	v_add_co_u32_e32 v14, vcc, s3, v14
	s_waitcnt vmcnt(0) lgkmcnt(0)
	v_mul_f64 v[4:5], v[10:11], v[2:3]
	v_mul_f64 v[2:3], v[8:9], v[2:3]
	v_fmac_f64_e32 v[4:5], v[8:9], v[0:1]
	v_fma_f64 v[2:3], v[0:1], v[10:11], -v[2:3]
	v_mul_f64 v[0:1], v[4:5], s[0:1]
	v_mul_f64 v[2:3], v[2:3], s[0:1]
	global_store_dwordx4 v[12:13], v[0:3], off
	global_load_dwordx4 v[0:3], v[16:17], off offset:32
	ds_read_b128 v[4:7], v208 offset:12320
	ds_read_b128 v[8:11], v208 offset:13552
	v_mad_u64_u32 v[12:13], s[4:5], s8, v24, v[12:13]
	v_add_u32_e32 v13, s2, v13
	v_addc_co_u32_e32 v15, vcc, 0, v15, vcc
	s_waitcnt vmcnt(0) lgkmcnt(1)
	v_mul_f64 v[22:23], v[6:7], v[2:3]
	v_mul_f64 v[2:3], v[4:5], v[2:3]
	v_fmac_f64_e32 v[22:23], v[4:5], v[0:1]
	v_fma_f64 v[2:3], v[0:1], v[6:7], -v[2:3]
	v_mul_f64 v[0:1], v[22:23], s[0:1]
	v_mul_f64 v[2:3], v[2:3], s[0:1]
	global_store_dwordx4 v[12:13], v[0:3], off
	global_load_dwordx4 v[0:3], v[16:17], off offset:1264
	v_mad_u64_u32 v[12:13], s[4:5], s8, v24, v[12:13]
	v_add_u32_e32 v13, s2, v13
	s_waitcnt vmcnt(0) lgkmcnt(0)
	v_mul_f64 v[4:5], v[10:11], v[2:3]
	v_mul_f64 v[2:3], v[8:9], v[2:3]
	v_fmac_f64_e32 v[4:5], v[8:9], v[0:1]
	v_fma_f64 v[2:3], v[0:1], v[10:11], -v[2:3]
	v_mul_f64 v[0:1], v[4:5], s[0:1]
	v_mul_f64 v[2:3], v[2:3], s[0:1]
	global_store_dwordx4 v[12:13], v[0:3], off
	global_load_dwordx4 v[0:3], v[16:17], off offset:2496
	ds_read_b128 v[4:7], v208 offset:14784
	ds_read_b128 v[8:11], v208 offset:16016
	v_mad_u64_u32 v[12:13], s[4:5], s8, v24, v[12:13]
	v_add_u32_e32 v13, s2, v13
	s_waitcnt vmcnt(0) lgkmcnt(1)
	v_mul_f64 v[22:23], v[6:7], v[2:3]
	v_mul_f64 v[2:3], v[4:5], v[2:3]
	v_fmac_f64_e32 v[22:23], v[4:5], v[0:1]
	v_fma_f64 v[2:3], v[0:1], v[6:7], -v[2:3]
	v_mul_f64 v[0:1], v[22:23], s[0:1]
	v_mul_f64 v[2:3], v[2:3], s[0:1]
	global_store_dwordx4 v[12:13], v[0:3], off
	global_load_dwordx4 v[0:3], v[16:17], off offset:3728
	v_mad_u64_u32 v[12:13], s[4:5], s8, v24, v[12:13]
	v_add_u32_e32 v13, s2, v13
	s_waitcnt vmcnt(0) lgkmcnt(0)
	v_mul_f64 v[4:5], v[10:11], v[2:3]
	v_mul_f64 v[2:3], v[8:9], v[2:3]
	v_fmac_f64_e32 v[4:5], v[8:9], v[0:1]
	v_fma_f64 v[2:3], v[0:1], v[10:11], -v[2:3]
	v_mul_f64 v[0:1], v[4:5], s[0:1]
	v_mul_f64 v[2:3], v[2:3], s[0:1]
	global_store_dwordx4 v[12:13], v[0:3], off
	global_load_dwordx4 v[0:3], v[14:15], off offset:864
	ds_read_b128 v[4:7], v208 offset:17248
	ds_read_b128 v[8:11], v208 offset:18480
	v_mad_u64_u32 v[12:13], s[4:5], s8, v24, v[12:13]
	v_add_u32_e32 v13, s2, v13
	s_waitcnt vmcnt(0) lgkmcnt(1)
	v_mul_f64 v[16:17], v[6:7], v[2:3]
	v_mul_f64 v[2:3], v[4:5], v[2:3]
	v_fmac_f64_e32 v[16:17], v[4:5], v[0:1]
	v_fma_f64 v[2:3], v[0:1], v[6:7], -v[2:3]
	v_mul_f64 v[0:1], v[16:17], s[0:1]
	v_mul_f64 v[2:3], v[2:3], s[0:1]
	global_store_dwordx4 v[12:13], v[0:3], off
	global_load_dwordx4 v[0:3], v[14:15], off offset:2096
	v_mad_u64_u32 v[4:5], s[4:5], s8, v24, v[12:13]
	v_add_u32_e32 v5, s2, v5
	s_waitcnt vmcnt(0) lgkmcnt(0)
	v_mul_f64 v[6:7], v[10:11], v[2:3]
	v_mul_f64 v[2:3], v[8:9], v[2:3]
	v_fmac_f64_e32 v[6:7], v[8:9], v[0:1]
	v_fma_f64 v[2:3], v[0:1], v[10:11], -v[2:3]
	v_mul_f64 v[0:1], v[6:7], s[0:1]
	v_mul_f64 v[2:3], v[2:3], s[0:1]
	global_store_dwordx4 v[4:5], v[0:3], off
	global_load_dwordx4 v[0:3], v[14:15], off offset:3328
	v_mad_u64_u32 v[4:5], s[4:5], s8, v24, v[4:5]
	v_add_u32_e32 v5, s2, v5
	s_waitcnt vmcnt(0)
	v_mul_f64 v[6:7], v[20:21], v[2:3]
	v_mul_f64 v[2:3], v[18:19], v[2:3]
	v_fmac_f64_e32 v[6:7], v[18:19], v[0:1]
	v_fma_f64 v[2:3], v[0:1], v[20:21], -v[2:3]
	v_mul_f64 v[0:1], v[6:7], s[0:1]
	v_mul_f64 v[2:3], v[2:3], s[0:1]
	global_store_dwordx4 v[4:5], v[0:3], off
.LBB0_23:
	s_endpgm
	.section	.rodata,"a",@progbits
	.p2align	6, 0x0
	.amdhsa_kernel bluestein_single_back_len1309_dim1_dp_op_CI_CI
		.amdhsa_group_segment_fixed_size 20944
		.amdhsa_private_segment_fixed_size 0
		.amdhsa_kernarg_size 104
		.amdhsa_user_sgpr_count 2
		.amdhsa_user_sgpr_dispatch_ptr 0
		.amdhsa_user_sgpr_queue_ptr 0
		.amdhsa_user_sgpr_kernarg_segment_ptr 1
		.amdhsa_user_sgpr_dispatch_id 0
		.amdhsa_user_sgpr_kernarg_preload_length 0
		.amdhsa_user_sgpr_kernarg_preload_offset 0
		.amdhsa_user_sgpr_private_segment_size 0
		.amdhsa_uses_dynamic_stack 0
		.amdhsa_enable_private_segment 0
		.amdhsa_system_sgpr_workgroup_id_x 1
		.amdhsa_system_sgpr_workgroup_id_y 0
		.amdhsa_system_sgpr_workgroup_id_z 0
		.amdhsa_system_sgpr_workgroup_info 0
		.amdhsa_system_vgpr_workitem_id 0
		.amdhsa_next_free_vgpr 360
		.amdhsa_next_free_sgpr 64
		.amdhsa_accum_offset 256
		.amdhsa_reserve_vcc 1
		.amdhsa_float_round_mode_32 0
		.amdhsa_float_round_mode_16_64 0
		.amdhsa_float_denorm_mode_32 3
		.amdhsa_float_denorm_mode_16_64 3
		.amdhsa_dx10_clamp 1
		.amdhsa_ieee_mode 1
		.amdhsa_fp16_overflow 0
		.amdhsa_tg_split 0
		.amdhsa_exception_fp_ieee_invalid_op 0
		.amdhsa_exception_fp_denorm_src 0
		.amdhsa_exception_fp_ieee_div_zero 0
		.amdhsa_exception_fp_ieee_overflow 0
		.amdhsa_exception_fp_ieee_underflow 0
		.amdhsa_exception_fp_ieee_inexact 0
		.amdhsa_exception_int_div_zero 0
	.end_amdhsa_kernel
	.text
.Lfunc_end0:
	.size	bluestein_single_back_len1309_dim1_dp_op_CI_CI, .Lfunc_end0-bluestein_single_back_len1309_dim1_dp_op_CI_CI
                                        ; -- End function
	.section	.AMDGPU.csdata,"",@progbits
; Kernel info:
; codeLenInByte = 31568
; NumSgprs: 70
; NumVgprs: 256
; NumAgprs: 104
; TotalNumVgprs: 360
; ScratchSize: 0
; MemoryBound: 0
; FloatMode: 240
; IeeeMode: 1
; LDSByteSize: 20944 bytes/workgroup (compile time only)
; SGPRBlocks: 8
; VGPRBlocks: 44
; NumSGPRsForWavesPerEU: 70
; NumVGPRsForWavesPerEU: 360
; AccumOffset: 256
; Occupancy: 1
; WaveLimiterHint : 1
; COMPUTE_PGM_RSRC2:SCRATCH_EN: 0
; COMPUTE_PGM_RSRC2:USER_SGPR: 2
; COMPUTE_PGM_RSRC2:TRAP_HANDLER: 0
; COMPUTE_PGM_RSRC2:TGID_X_EN: 1
; COMPUTE_PGM_RSRC2:TGID_Y_EN: 0
; COMPUTE_PGM_RSRC2:TGID_Z_EN: 0
; COMPUTE_PGM_RSRC2:TIDIG_COMP_CNT: 0
; COMPUTE_PGM_RSRC3_GFX90A:ACCUM_OFFSET: 63
; COMPUTE_PGM_RSRC3_GFX90A:TG_SPLIT: 0
	.text
	.p2alignl 6, 3212836864
	.fill 256, 4, 3212836864
	.type	__hip_cuid_5ba720476c59afde,@object ; @__hip_cuid_5ba720476c59afde
	.section	.bss,"aw",@nobits
	.globl	__hip_cuid_5ba720476c59afde
__hip_cuid_5ba720476c59afde:
	.byte	0                               ; 0x0
	.size	__hip_cuid_5ba720476c59afde, 1

	.ident	"AMD clang version 19.0.0git (https://github.com/RadeonOpenCompute/llvm-project roc-6.4.0 25133 c7fe45cf4b819c5991fe208aaa96edf142730f1d)"
	.section	".note.GNU-stack","",@progbits
	.addrsig
	.addrsig_sym __hip_cuid_5ba720476c59afde
	.amdgpu_metadata
---
amdhsa.kernels:
  - .agpr_count:     104
    .args:
      - .actual_access:  read_only
        .address_space:  global
        .offset:         0
        .size:           8
        .value_kind:     global_buffer
      - .actual_access:  read_only
        .address_space:  global
        .offset:         8
        .size:           8
        .value_kind:     global_buffer
      - .actual_access:  read_only
        .address_space:  global
        .offset:         16
        .size:           8
        .value_kind:     global_buffer
      - .actual_access:  read_only
        .address_space:  global
        .offset:         24
        .size:           8
        .value_kind:     global_buffer
      - .actual_access:  read_only
        .address_space:  global
        .offset:         32
        .size:           8
        .value_kind:     global_buffer
      - .offset:         40
        .size:           8
        .value_kind:     by_value
      - .address_space:  global
        .offset:         48
        .size:           8
        .value_kind:     global_buffer
      - .address_space:  global
        .offset:         56
        .size:           8
        .value_kind:     global_buffer
      - .address_space:  global
        .offset:         64
        .size:           8
        .value_kind:     global_buffer
      - .address_space:  global
        .offset:         72
        .size:           8
        .value_kind:     global_buffer
      - .offset:         80
        .size:           4
        .value_kind:     by_value
      - .address_space:  global
        .offset:         88
        .size:           8
        .value_kind:     global_buffer
      - .address_space:  global
        .offset:         96
        .size:           8
        .value_kind:     global_buffer
    .group_segment_fixed_size: 20944
    .kernarg_segment_align: 8
    .kernarg_segment_size: 104
    .language:       OpenCL C
    .language_version:
      - 2
      - 0
    .max_flat_workgroup_size: 119
    .name:           bluestein_single_back_len1309_dim1_dp_op_CI_CI
    .private_segment_fixed_size: 0
    .sgpr_count:     70
    .sgpr_spill_count: 0
    .symbol:         bluestein_single_back_len1309_dim1_dp_op_CI_CI.kd
    .uniform_work_group_size: 1
    .uses_dynamic_stack: false
    .vgpr_count:     360
    .vgpr_spill_count: 0
    .wavefront_size: 64
amdhsa.target:   amdgcn-amd-amdhsa--gfx950
amdhsa.version:
  - 1
  - 2
...

	.end_amdgpu_metadata
